;; amdgpu-corpus repo=ROCm/rocFFT kind=compiled arch=gfx1100 opt=O3
	.text
	.amdgcn_target "amdgcn-amd-amdhsa--gfx1100"
	.amdhsa_code_object_version 6
	.protected	bluestein_single_fwd_len480_dim1_dp_op_CI_CI ; -- Begin function bluestein_single_fwd_len480_dim1_dp_op_CI_CI
	.globl	bluestein_single_fwd_len480_dim1_dp_op_CI_CI
	.p2align	8
	.type	bluestein_single_fwd_len480_dim1_dp_op_CI_CI,@function
bluestein_single_fwd_len480_dim1_dp_op_CI_CI: ; @bluestein_single_fwd_len480_dim1_dp_op_CI_CI
; %bb.0:
	s_load_b128 s[16:19], s[0:1], 0x28
	v_lshrrev_b32_e32 v40, 4, v0
	v_mov_b32_e32 v7, 0
	s_mov_b32 s2, exec_lo
	s_delay_alu instid0(VALU_DEP_2) | instskip(SKIP_1) | instid1(VALU_DEP_1)
	v_lshl_or_b32 v6, s15, 2, v40
	s_waitcnt lgkmcnt(0)
	v_cmpx_gt_u64_e64 s[16:17], v[6:7]
	s_cbranch_execz .LBB0_10
; %bb.1:
	s_clause 0x1
	s_load_b128 s[4:7], s[0:1], 0x18
	s_load_b128 s[8:11], s[0:1], 0x0
	v_and_b32_e32 v130, 15, v0
	v_mov_b32_e32 v4, v6
	v_mul_u32_u24_e32 v131, 0x1e0, v40
	s_mov_b32 s16, 0x134454ff
	s_mov_b32 s17, 0x3fee6f0e
	;; [unrolled: 1-line block ×3, first 2 shown]
	scratch_store_b64 off, v[4:5], off offset:48 ; 8-byte Folded Spill
	s_mov_b32 s20, s16
	s_waitcnt lgkmcnt(0)
	s_load_b128 s[12:15], s[4:5], 0x0
	s_waitcnt lgkmcnt(0)
	v_mad_u64_u32 v[0:1], null, s14, v6, 0
	v_mad_u64_u32 v[2:3], null, s12, v130, 0
	s_mul_i32 s2, s13, 0x300
	s_mul_hi_u32 s4, s12, 0x300
	s_mul_i32 s3, s12, 0x300
	s_add_i32 s2, s4, s2
	s_mul_i32 s4, s13, 0xffffe600
	s_delay_alu instid0(VALU_DEP_1) | instskip(SKIP_3) | instid1(VALU_DEP_1)
	v_mad_u64_u32 v[4:5], null, s15, v6, v[1:2]
	s_sub_i32 s4, s4, s12
	s_mov_b32 s14, 0x372fe950
	s_mov_b32 s15, 0x3fd3c6ef
	v_mov_b32_e32 v1, v4
	v_mad_u64_u32 v[5:6], null, s13, v130, v[3:4]
	v_lshlrev_b32_e32 v215, 4, v130
	v_or_b32_e32 v10, 0x120, v130
	s_delay_alu instid0(VALU_DEP_4)
	v_lshlrev_b64 v[0:1], 4, v[0:1]
	v_or_b32_e32 v30, 0x150, v130
	v_or_b32_e32 v34, 0x180, v130
	global_load_b128 v[89:92], v215, s[8:9]
	v_dual_mov_b32 v3, v5 :: v_dual_lshlrev_b32 v10, 4, v10
	v_add_co_u32 v0, vcc_lo, s18, v0
	v_add_co_ci_u32_e32 v1, vcc_lo, s19, v1, vcc_lo
	s_delay_alu instid0(VALU_DEP_3)
	v_lshlrev_b64 v[2:3], 4, v[2:3]
	v_lshlrev_b32_e32 v30, 4, v30
	v_lshlrev_b32_e32 v34, 4, v34
	v_or_b32_e32 v38, 0x1b0, v130
	v_or_b32_e32 v40, v131, v130
	v_lshl_or_b32 v214, v131, 4, v215
	v_add_co_u32 v0, vcc_lo, v0, v2
	v_add_co_ci_u32_e32 v1, vcc_lo, v1, v3, vcc_lo
	v_lshlrev_b32_e32 v38, 4, v38
	v_lshlrev_b32_e32 v138, 4, v40
	s_mov_b32 s13, 0xbfe2cf23
	global_load_b128 v[12:15], v[0:1], off
	v_add_co_u32 v0, vcc_lo, v0, s3
	v_add_co_ci_u32_e32 v1, vcc_lo, s2, v1, vcc_lo
	global_load_b128 v[85:88], v215, s[8:9] offset:768
	global_load_b128 v[16:19], v[0:1], off
	v_add_co_u32 v0, vcc_lo, v0, s3
	v_add_co_ci_u32_e32 v1, vcc_lo, s2, v1, vcc_lo
	global_load_b128 v[73:76], v215, s[8:9] offset:1536
	;; [unrolled: 4-line block ×5, first 2 shown]
	global_load_b128 v[4:7], v[8:9], off
	v_add_co_u32 v28, vcc_lo, v8, s3
	v_add_co_ci_u32_e32 v29, vcc_lo, s2, v9, vcc_lo
	scratch_store_b32 off, v10, off offset:552 ; 4-byte Folded Spill
	global_load_b128 v[57:60], v10, s[8:9]
	global_load_b128 v[8:11], v[28:29], off
	v_add_co_u32 v32, vcc_lo, v28, s3
	v_add_co_ci_u32_e32 v33, vcc_lo, s2, v29, vcc_lo
	scratch_store_b32 off, v30, off offset:540 ; 4-byte Folded Spill
	global_load_b128 v[53:56], v30, s[8:9]
	;; [unrolled: 5-line block ×4, first 2 shown]
	global_load_b128 v[36:39], v[41:42], off
	v_mad_u64_u32 v[51:52], null, 0xffffe600, s12, v[41:42]
	global_load_b128 v[93:96], v215, s[8:9] offset:256
	s_mov_b32 s18, 0x9b97f4a8
	s_mov_b32 s19, 0x3fe9e377
	v_add_nc_u32_e32 v52, s4, v52
	s_waitcnt vmcnt(20)
	scratch_store_b128 off, v[89:92], off offset:204 ; 16-byte Folded Spill
	s_waitcnt vmcnt(19)
	v_mul_f64 v[43:44], v[14:15], v[91:92]
	v_mul_f64 v[45:46], v[12:13], v[91:92]
	s_waitcnt vmcnt(18)
	scratch_store_b128 off, v[85:88], off offset:188 ; 16-byte Folded Spill
	s_waitcnt vmcnt(17)
	v_mul_f64 v[47:48], v[18:19], v[87:88]
	v_mul_f64 v[49:50], v[16:17], v[87:88]
	s_waitcnt vmcnt(16)
	scratch_store_b128 off, v[73:76], off offset:140 ; 16-byte Folded Spill
	s_waitcnt vmcnt(14)
	scratch_store_b128 off, v[77:80], off offset:156 ; 16-byte Folded Spill
	;; [unrolled: 2-line block ×4, first 2 shown]
	v_fma_f64 v[12:13], v[12:13], v[89:90], v[43:44]
	global_load_b128 v[41:44], v[51:52], off
	v_fma_f64 v[14:15], v[14:15], v[89:90], -v[45:46]
	v_mul_f64 v[45:46], v[22:23], v[75:76]
	s_waitcnt vmcnt(9)
	scratch_store_b128 off, v[57:60], off offset:76 ; 16-byte Folded Spill
	v_fma_f64 v[16:17], v[16:17], v[85:86], v[47:48]
	v_mul_f64 v[47:48], v[20:21], v[75:76]
	v_fma_f64 v[18:19], v[18:19], v[85:86], -v[49:50]
	s_waitcnt vmcnt(7)
	scratch_store_b128 off, v[53:56], off offset:60 ; 16-byte Folded Spill
	v_mul_f64 v[49:50], v[26:27], v[79:80]
	s_waitcnt vmcnt(5)
	scratch_store_b128 off, v[65:68], off offset:108 ; 16-byte Folded Spill
	s_waitcnt vmcnt(3)
	scratch_store_b128 off, v[61:64], off offset:92 ; 16-byte Folded Spill
	;; [unrolled: 2-line block ×3, first 2 shown]
	v_fma_f64 v[20:21], v[20:21], v[73:74], v[45:46]
	v_mul_f64 v[45:46], v[24:25], v[79:80]
	v_fma_f64 v[22:23], v[22:23], v[73:74], -v[47:48]
	v_mul_f64 v[47:48], v[2:3], v[83:84]
	v_fma_f64 v[24:25], v[24:25], v[77:78], v[49:50]
	v_mul_f64 v[49:50], v[6:7], v[71:72]
	v_fma_f64 v[26:27], v[26:27], v[77:78], -v[45:46]
	v_mul_f64 v[45:46], v[0:1], v[83:84]
	v_fma_f64 v[0:1], v[0:1], v[81:82], v[47:48]
	v_mul_f64 v[47:48], v[10:11], v[59:60]
	s_delay_alu instid0(VALU_DEP_3) | instskip(SKIP_3) | instid1(VALU_DEP_3)
	v_fma_f64 v[2:3], v[2:3], v[81:82], -v[45:46]
	v_mul_f64 v[45:46], v[4:5], v[71:72]
	v_fma_f64 v[4:5], v[4:5], v[69:70], v[49:50]
	v_mul_f64 v[49:50], v[30:31], v[55:56]
	v_fma_f64 v[6:7], v[6:7], v[69:70], -v[45:46]
	v_mul_f64 v[45:46], v[8:9], v[59:60]
	v_fma_f64 v[8:9], v[8:9], v[57:58], v[47:48]
	v_mul_f64 v[47:48], v[34:35], v[67:68]
	s_delay_alu instid0(VALU_DEP_3) | instskip(SKIP_3) | instid1(VALU_DEP_3)
	v_fma_f64 v[10:11], v[10:11], v[57:58], -v[45:46]
	v_mul_f64 v[45:46], v[28:29], v[55:56]
	v_fma_f64 v[28:29], v[28:29], v[53:54], v[49:50]
	v_mul_f64 v[49:50], v[38:39], v[63:64]
	v_fma_f64 v[30:31], v[30:31], v[53:54], -v[45:46]
	v_mul_f64 v[45:46], v[32:33], v[67:68]
	v_fma_f64 v[32:33], v[32:33], v[65:66], v[47:48]
	s_delay_alu instid0(VALU_DEP_2) | instskip(SKIP_4) | instid1(VALU_DEP_4)
	v_fma_f64 v[34:35], v[34:35], v[65:66], -v[45:46]
	v_mul_f64 v[45:46], v[36:37], v[63:64]
	v_fma_f64 v[36:37], v[36:37], v[61:62], v[49:50]
	v_add_co_u32 v49, vcc_lo, v51, s3
	v_add_co_ci_u32_e32 v50, vcc_lo, s2, v52, vcc_lo
	v_fma_f64 v[38:39], v[38:39], v[61:62], -v[45:46]
	s_waitcnt vmcnt(0)
	v_mul_f64 v[47:48], v[43:44], v[95:96]
	v_mul_f64 v[45:46], v[41:42], v[95:96]
	s_delay_alu instid0(VALU_DEP_2) | instskip(NEXT) | instid1(VALU_DEP_2)
	v_fma_f64 v[41:42], v[41:42], v[93:94], v[47:48]
	v_fma_f64 v[43:44], v[43:44], v[93:94], -v[45:46]
	global_load_b128 v[55:58], v215, s[8:9] offset:1024
	global_load_b128 v[45:48], v[49:50], off
	s_waitcnt vmcnt(1)
	scratch_store_b128 off, v[55:58], off offset:412 ; 16-byte Folded Spill
	s_waitcnt vmcnt(0)
	v_mul_f64 v[53:54], v[45:46], v[57:58]
	v_mul_f64 v[51:52], v[47:48], v[57:58]
	s_delay_alu instid0(VALU_DEP_2) | instskip(SKIP_2) | instid1(VALU_DEP_4)
	v_fma_f64 v[47:48], v[47:48], v[55:56], -v[53:54]
	v_add_co_u32 v53, vcc_lo, v49, s3
	v_add_co_ci_u32_e32 v54, vcc_lo, s2, v50, vcc_lo
	v_fma_f64 v[45:46], v[45:46], v[55:56], v[51:52]
	global_load_b128 v[59:62], v215, s[8:9] offset:1792
	global_load_b128 v[49:52], v[53:54], off
	s_waitcnt vmcnt(1)
	scratch_store_b128 off, v[59:62], off offset:508 ; 16-byte Folded Spill
	s_waitcnt vmcnt(0)
	v_mul_f64 v[57:58], v[49:50], v[61:62]
	v_mul_f64 v[55:56], v[51:52], v[61:62]
	s_delay_alu instid0(VALU_DEP_2) | instskip(SKIP_2) | instid1(VALU_DEP_4)
	v_fma_f64 v[51:52], v[51:52], v[59:60], -v[57:58]
	v_add_co_u32 v57, vcc_lo, v53, s3
	v_add_co_ci_u32_e32 v58, vcc_lo, s2, v54, vcc_lo
	v_fma_f64 v[49:50], v[49:50], v[59:60], v[55:56]
	;; [unrolled: 12-line block ×3, first 2 shown]
	global_load_b128 v[67:70], v215, s[8:9] offset:3328
	global_load_b128 v[57:60], v[61:62], off
	s_waitcnt vmcnt(0)
	v_mul_f64 v[65:66], v[57:58], v[69:70]
	v_mul_f64 v[63:64], v[59:60], v[69:70]
	s_delay_alu instid0(VALU_DEP_2) | instskip(SKIP_4) | instid1(VALU_DEP_3)
	v_fma_f64 v[59:60], v[59:60], v[67:68], -v[65:66]
	v_add_co_u32 v65, vcc_lo, v61, s3
	v_or_b32_e32 v61, 0x100, v130
	v_add_co_ci_u32_e32 v66, vcc_lo, s2, v62, vcc_lo
	v_fma_f64 v[57:58], v[57:58], v[67:68], v[63:64]
	v_lshlrev_b32_e32 v61, 4, v61
	s_clause 0x1
	scratch_store_b128 off, v[67:70], off offset:460
	scratch_store_b32 off, v61, off offset:588
	global_load_b128 v[71:74], v61, s[8:9]
	global_load_b128 v[61:64], v[65:66], off
	s_waitcnt vmcnt(0)
	v_mul_f64 v[69:70], v[61:62], v[73:74]
	v_mul_f64 v[67:68], v[63:64], v[73:74]
	s_delay_alu instid0(VALU_DEP_2) | instskip(SKIP_4) | instid1(VALU_DEP_3)
	v_fma_f64 v[63:64], v[63:64], v[71:72], -v[69:70]
	v_add_co_u32 v69, vcc_lo, v65, s3
	v_or_b32_e32 v65, 0x130, v130
	v_add_co_ci_u32_e32 v70, vcc_lo, s2, v66, vcc_lo
	v_fma_f64 v[61:62], v[61:62], v[71:72], v[67:68]
	v_lshlrev_b32_e32 v65, 4, v65
	s_clause 0x1
	scratch_store_b128 off, v[71:74], off offset:428
	scratch_store_b32 off, v65, off offset:596
	global_load_b128 v[75:78], v65, s[8:9]
	;; [unrolled: 15-line block ×5, first 2 shown]
	global_load_b128 v[77:80], v[81:82], off
	s_waitcnt vmcnt(1)
	scratch_store_b128 off, v[87:90], off offset:348 ; 16-byte Folded Spill
	s_waitcnt vmcnt(0)
	v_mul_f64 v[85:86], v[77:78], v[89:90]
	v_mul_f64 v[83:84], v[79:80], v[89:90]
	s_delay_alu instid0(VALU_DEP_2) | instskip(SKIP_1) | instid1(VALU_DEP_3)
	v_fma_f64 v[79:80], v[79:80], v[87:88], -v[85:86]
	v_mad_u64_u32 v[85:86], null, 0xffffe600, s12, v[81:82]
	v_fma_f64 v[77:78], v[77:78], v[87:88], v[83:84]
	s_delay_alu instid0(VALU_DEP_2)
	v_add_nc_u32_e32 v86, s4, v86
	global_load_b128 v[91:94], v215, s[8:9] offset:512
	global_load_b128 v[81:84], v[85:86], off
	s_waitcnt vmcnt(1)
	scratch_store_b128 off, v[91:94], off offset:364 ; 16-byte Folded Spill
	s_waitcnt vmcnt(0)
	v_mul_f64 v[89:90], v[81:82], v[93:94]
	v_mul_f64 v[87:88], v[83:84], v[93:94]
	s_delay_alu instid0(VALU_DEP_2) | instskip(SKIP_2) | instid1(VALU_DEP_4)
	v_fma_f64 v[83:84], v[83:84], v[91:92], -v[89:90]
	v_add_co_u32 v89, vcc_lo, v85, s3
	v_add_co_ci_u32_e32 v90, vcc_lo, s2, v86, vcc_lo
	v_fma_f64 v[81:82], v[81:82], v[91:92], v[87:88]
	global_load_b128 v[95:98], v215, s[8:9] offset:1280
	global_load_b128 v[85:88], v[89:90], off
	s_waitcnt vmcnt(1)
	scratch_store_b128 off, v[95:98], off offset:380 ; 16-byte Folded Spill
	s_waitcnt vmcnt(0)
	v_mul_f64 v[93:94], v[85:86], v[97:98]
	v_mul_f64 v[91:92], v[87:88], v[97:98]
	s_delay_alu instid0(VALU_DEP_2) | instskip(SKIP_2) | instid1(VALU_DEP_4)
	v_fma_f64 v[87:88], v[87:88], v[95:96], -v[93:94]
	v_add_co_u32 v93, vcc_lo, v89, s3
	v_add_co_ci_u32_e32 v94, vcc_lo, s2, v90, vcc_lo
	v_fma_f64 v[85:86], v[85:86], v[95:96], v[91:92]
	;; [unrolled: 12-line block ×4, first 2 shown]
	global_load_b128 v[107:110], v215, s[8:9] offset:3584
	global_load_b128 v[97:100], v[101:102], off
	s_waitcnt vmcnt(0)
	v_mul_f64 v[105:106], v[97:98], v[109:110]
	v_mul_f64 v[103:104], v[99:100], v[109:110]
	s_delay_alu instid0(VALU_DEP_2) | instskip(SKIP_4) | instid1(VALU_DEP_3)
	v_fma_f64 v[99:100], v[99:100], v[107:108], -v[105:106]
	v_add_co_u32 v105, vcc_lo, v101, s3
	v_or_b32_e32 v101, 0x110, v130
	v_add_co_ci_u32_e32 v106, vcc_lo, s2, v102, vcc_lo
	v_fma_f64 v[97:98], v[97:98], v[107:108], v[103:104]
	v_lshlrev_b32_e32 v101, 4, v101
	s_clause 0x1
	scratch_store_b128 off, v[107:110], off offset:268
	scratch_store_b32 off, v101, off offset:576
	global_load_b128 v[111:114], v101, s[8:9]
	global_load_b128 v[101:104], v[105:106], off
	s_waitcnt vmcnt(0)
	v_mul_f64 v[109:110], v[101:102], v[113:114]
	v_mul_f64 v[107:108], v[103:104], v[113:114]
	s_delay_alu instid0(VALU_DEP_2) | instskip(SKIP_4) | instid1(VALU_DEP_3)
	v_fma_f64 v[103:104], v[103:104], v[111:112], -v[109:110]
	v_add_co_u32 v109, vcc_lo, v105, s3
	v_or_b32_e32 v105, 0x140, v130
	v_add_co_ci_u32_e32 v110, vcc_lo, s2, v106, vcc_lo
	v_fma_f64 v[101:102], v[101:102], v[111:112], v[107:108]
	v_lshlrev_b32_e32 v105, 4, v105
	s_clause 0x1
	scratch_store_b128 off, v[111:114], off offset:284
	scratch_store_b32 off, v105, off offset:580
	global_load_b128 v[115:118], v105, s[8:9]
	global_load_b128 v[105:108], v[109:110], off
	s_waitcnt vmcnt(0)
	v_mul_f64 v[113:114], v[105:106], v[117:118]
	v_mul_f64 v[111:112], v[107:108], v[117:118]
	s_delay_alu instid0(VALU_DEP_2) | instskip(SKIP_4) | instid1(VALU_DEP_3)
	v_fma_f64 v[107:108], v[107:108], v[115:116], -v[113:114]
	v_add_co_u32 v113, vcc_lo, v109, s3
	v_or_b32_e32 v109, 0x170, v130
	v_add_co_ci_u32_e32 v114, vcc_lo, s2, v110, vcc_lo
	v_fma_f64 v[105:106], v[105:106], v[115:116], v[111:112]
	v_lshlrev_b32_e32 v109, 4, v109
	s_clause 0x1
	scratch_store_b128 off, v[115:118], off offset:236
	scratch_store_b32 off, v109, off offset:584
	global_load_b128 v[119:122], v109, s[8:9]
	global_load_b128 v[109:112], v[113:114], off
	s_waitcnt vmcnt(0)
	v_mul_f64 v[117:118], v[109:110], v[121:122]
	v_mul_f64 v[115:116], v[111:112], v[121:122]
	s_delay_alu instid0(VALU_DEP_2) | instskip(SKIP_4) | instid1(VALU_DEP_3)
	v_fma_f64 v[111:112], v[111:112], v[119:120], -v[117:118]
	v_add_co_u32 v117, vcc_lo, v113, s3
	v_or_b32_e32 v113, 0x1a0, v130
	v_add_co_ci_u32_e32 v118, vcc_lo, s2, v114, vcc_lo
	v_fma_f64 v[109:110], v[109:110], v[119:120], v[115:116]
	v_lshlrev_b32_e32 v113, 4, v113
	s_clause 0x1
	scratch_store_b128 off, v[119:122], off offset:252
	scratch_store_b32 off, v113, off offset:592
	global_load_b128 v[123:126], v113, s[8:9]
	global_load_b128 v[113:116], v[117:118], off
	v_add_co_u32 v117, vcc_lo, v117, s3
	v_add_co_ci_u32_e32 v118, vcc_lo, s2, v118, vcc_lo
	ds_store_b128 v138, v[12:15]
	s_mov_b32 s2, 0x4755a5e
	s_mov_b32 s3, 0x3fe2cf23
	;; [unrolled: 1-line block ×3, first 2 shown]
	s_waitcnt vmcnt(0)
	v_mul_f64 v[119:120], v[115:116], v[125:126]
	v_mul_f64 v[121:122], v[113:114], v[125:126]
	s_delay_alu instid0(VALU_DEP_2) | instskip(SKIP_1) | instid1(VALU_DEP_3)
	v_fma_f64 v[113:114], v[113:114], v[123:124], v[119:120]
	v_or_b32_e32 v119, 0x1d0, v130
	v_fma_f64 v[115:116], v[115:116], v[123:124], -v[121:122]
	s_delay_alu instid0(VALU_DEP_2)
	v_lshlrev_b32_e32 v121, 4, v119
	scratch_store_b128 off, v[123:126], off offset:316 ; 16-byte Folded Spill
	global_load_b128 v[117:120], v[117:118], off
	scratch_store_b32 off, v121, off offset:604 ; 4-byte Folded Spill
	global_load_b128 v[125:128], v121, s[8:9]
	s_waitcnt vmcnt(0)
	v_mul_f64 v[121:122], v[119:120], v[127:128]
	v_mul_f64 v[123:124], v[117:118], v[127:128]
	scratch_store_b128 off, v[125:128], off offset:332 ; 16-byte Folded Spill
	v_fma_f64 v[117:118], v[117:118], v[125:126], v[121:122]
	v_fma_f64 v[119:120], v[119:120], v[125:126], -v[123:124]
	ds_store_b128 v214, v[16:19] offset:768
	ds_store_b128 v214, v[20:23] offset:1536
	;; [unrolled: 1-line block ×29, first 2 shown]
	s_load_b128 s[4:7], s[6:7], 0x0
	s_waitcnt lgkmcnt(0)
	s_waitcnt_vscnt null, 0x0
	s_barrier
	buffer_gl0_inv
	ds_load_b128 v[4:7], v214 offset:1536
	ds_load_b128 v[0:3], v138
	ds_load_b128 v[10:13], v214 offset:3072
	ds_load_b128 v[28:31], v214 offset:4608
	s_waitcnt lgkmcnt(2)
	v_add_f64 v[8:9], v[0:1], v[4:5]
	s_waitcnt lgkmcnt(1)
	v_add_f64 v[44:45], v[4:5], -v[10:11]
	s_waitcnt lgkmcnt(0)
	v_add_f64 v[202:203], v[10:11], v[28:29]
	v_add_f64 v[20:21], v[12:13], -v[30:31]
	v_add_f64 v[32:33], v[10:11], -v[4:5]
	v_add_f64 v[206:207], v[12:13], v[30:31]
	v_add_f64 v[22:23], v[10:11], -v[28:29]
	v_add_f64 v[46:47], v[6:7], -v[12:13]
	;; [unrolled: 1-line block ×3, first 2 shown]
	v_add_f64 v[16:17], v[8:9], v[10:11]
	v_add_f64 v[8:9], v[2:3], v[6:7]
	s_delay_alu instid0(VALU_DEP_1)
	v_add_f64 v[36:37], v[8:9], v[12:13]
	ds_load_b128 v[10:13], v214 offset:6144
	s_waitcnt lgkmcnt(0)
	v_add_f64 v[24:25], v[6:7], -v[12:13]
	v_add_f64 v[204:205], v[4:5], v[10:11]
	v_add_f64 v[26:27], v[4:5], -v[10:11]
	v_add_f64 v[210:211], v[6:7], v[12:13]
	v_add_f64 v[4:5], v[16:17], v[28:29]
	v_add_f64 v[50:51], v[10:11], -v[28:29]
	v_add_f64 v[40:41], v[28:29], -v[10:11]
	;; [unrolled: 1-line block ×4, first 2 shown]
	v_add_f64 v[6:7], v[36:37], v[30:31]
	v_fma_f64 v[204:205], v[204:205], -0.5, v[0:1]
	v_add_f64 v[10:11], v[4:5], v[10:11]
	v_add_f64 v[32:33], v[32:33], v[40:41]
	;; [unrolled: 1-line block ×4, first 2 shown]
	ds_load_b128 v[56:59], v214 offset:2304
	ds_load_b128 v[4:7], v214 offset:768
	;; [unrolled: 1-line block ×9, first 2 shown]
	s_waitcnt lgkmcnt(7)
	v_add_f64 v[16:17], v[4:5], v[56:57]
	s_waitcnt lgkmcnt(6)
	v_add_f64 v[62:63], v[56:57], -v[36:37]
	s_waitcnt lgkmcnt(5)
	v_add_f64 v[208:209], v[36:37], v[68:69]
	v_add_f64 v[48:49], v[36:37], -v[56:57]
	v_add_f64 v[30:31], v[36:37], -v[68:69]
	s_waitcnt lgkmcnt(4)
	v_add_f64 v[212:213], v[56:57], v[76:77]
	v_add_f64 v[28:29], v[38:39], -v[70:71]
	v_add_f64 v[162:163], v[38:39], v[70:71]
	v_add_f64 v[66:67], v[58:59], -v[38:39]
	v_add_f64 v[54:55], v[38:39], -v[58:59]
	v_add_f64 v[178:179], v[58:59], v[78:79]
	v_add_f64 v[72:73], v[76:77], -v[68:69]
	v_add_f64 v[74:75], v[78:79], -v[70:71]
	s_waitcnt lgkmcnt(1)
	v_add_f64 v[196:197], v[82:83], v[98:99]
	v_add_f64 v[230:231], v[84:85], v[100:101]
	s_waitcnt lgkmcnt(0)
	v_add_f64 v[92:93], v[98:99], -v[94:95]
	v_add_f64 v[60:61], v[16:17], v[36:37]
	v_add_f64 v[16:17], v[6:7], v[58:59]
	v_add_f64 v[36:37], v[56:57], -v[76:77]
	v_fma_f64 v[208:209], v[208:209], -0.5, v[4:5]
	v_fma_f64 v[212:213], v[212:213], -0.5, v[4:5]
	;; [unrolled: 1-line block ×3, first 2 shown]
	v_add_f64 v[56:57], v[60:61], v[68:69]
	v_add_f64 v[64:65], v[16:17], v[38:39]
	v_add_f64 v[38:39], v[58:59], -v[78:79]
	v_add_f64 v[60:61], v[68:69], -v[76:77]
	v_fma_f64 v[42:43], v[28:29], s[20:21], v[212:213]
	v_add_f64 v[188:189], v[56:57], v[76:77]
	v_add_f64 v[58:59], v[64:65], v[70:71]
	v_add_f64 v[64:65], v[70:71], -v[78:79]
	ds_load_b128 v[68:71], v214 offset:3328
	v_add_f64 v[56:57], v[166:167], v[82:83]
	v_add_f64 v[48:49], v[48:49], v[60:61]
	v_fma_f64 v[42:43], v[38:39], s[2:3], v[42:43]
	s_waitcnt lgkmcnt(0)
	v_add_f64 v[8:9], v[68:69], -v[82:83]
	v_add_f64 v[192:193], v[68:69], v[94:95]
	v_add_f64 v[80:81], v[82:83], -v[68:69]
	v_add_f64 v[194:195], v[70:71], v[96:97]
	;; [unrolled: 2-line block ×3, first 2 shown]
	v_add_f64 v[190:191], v[58:59], v[78:79]
	v_add_f64 v[58:59], v[68:69], -v[94:95]
	v_add_f64 v[78:79], v[96:97], -v[100:101]
	v_add_f64 v[86:87], v[56:57], v[68:69]
	v_add_f64 v[56:57], v[168:169], v[84:85]
	v_add_f64 v[68:69], v[84:85], -v[100:101]
	v_add_f64 v[54:55], v[54:55], v[64:65]
	v_fma_f64 v[42:43], v[48:49], s[14:15], v[42:43]
	scratch_store_b64 off, v[8:9], off      ; 8-byte Folded Spill
	v_add_f64 v[8:9], v[70:71], -v[84:85]
	v_add_f64 v[228:229], v[12:13], v[190:191]
	v_add_f64 v[86:87], v[86:87], v[94:95]
	;; [unrolled: 1-line block ×3, first 2 shown]
	v_add_f64 v[56:57], v[70:71], -v[96:97]
	v_add_f64 v[70:71], v[82:83], -v[98:99]
	;; [unrolled: 1-line block ×4, first 2 shown]
	scratch_store_b64 off, v[8:9], off offset:8 ; 8-byte Folded Spill
	ds_load_b128 v[108:111], v214 offset:2560
	ds_load_b128 v[170:173], v214 offset:1024
	;; [unrolled: 1-line block ×4, first 2 shown]
	v_add_f64 v[232:233], v[86:87], v[98:99]
	v_add_f64 v[90:91], v[90:91], v[96:97]
	ds_load_b128 v[96:99], v214 offset:4096
	s_waitcnt lgkmcnt(3)
	v_add_f64 v[86:87], v[170:171], v[108:109]
	ds_load_b128 v[218:221], v214 offset:512
	ds_load_b128 v[132:135], v214 offset:2048
	s_waitcnt lgkmcnt(3)
	v_add_f64 v[240:241], v[108:109], v[124:125]
	v_add_f64 v[242:243], v[110:111], v[126:127]
	v_add_f64 v[120:121], v[124:125], -v[116:117]
	v_add_f64 v[122:123], v[126:127], -v[118:119]
	ds_load_b128 v[148:151], v214 offset:6656
	ds_load_b128 v[144:147], v214 offset:5120
	s_waitcnt lgkmcnt(4)
	v_add_f64 v[236:237], v[96:97], v[116:117]
	v_add_f64 v[106:107], v[108:109], -v[96:97]
	v_add_f64 v[238:239], v[98:99], v[118:119]
	v_add_f64 v[114:115], v[110:111], -v[98:99]
	v_add_f64 v[104:105], v[98:99], -v[110:111]
	s_waitcnt lgkmcnt(1)
	v_add_f64 v[252:253], v[132:133], v[148:149]
	v_add_f64 v[254:255], v[134:135], v[150:151]
	s_waitcnt lgkmcnt(0)
	v_add_f64 v[142:143], v[148:149], -v[144:145]
	v_add_f64 v[234:235], v[90:91], v[100:101]
	v_add_f64 v[100:101], v[96:97], -v[108:109]
	v_add_f64 v[102:103], v[86:87], v[96:97]
	v_add_f64 v[86:87], v[172:173], v[110:111]
	v_add_f64 v[90:91], v[96:97], -v[116:117]
	v_add_f64 v[96:97], v[108:109], -v[124:125]
	s_delay_alu instid0(VALU_DEP_4) | instskip(NEXT) | instid1(VALU_DEP_4)
	v_add_f64 v[102:103], v[102:103], v[116:117]
	v_add_f64 v[112:113], v[86:87], v[98:99]
	v_add_f64 v[86:87], v[98:99], -v[118:119]
	v_add_f64 v[98:99], v[110:111], -v[126:127]
	;; [unrolled: 1-line block ×3, first 2 shown]
	v_add_f64 v[244:245], v[102:103], v[124:125]
	v_add_f64 v[102:103], v[218:219], v[132:133]
	;; [unrolled: 1-line block ×3, first 2 shown]
	v_add_f64 v[112:113], v[118:119], -v[126:127]
	ds_load_b128 v[116:119], v214 offset:3584
	ds_load_b128 v[222:225], v214 offset:1280
	;; [unrolled: 1-line block ×5, first 2 shown]
	s_waitcnt lgkmcnt(4)
	v_add_f64 v[88:89], v[132:133], -v[116:117]
	v_add_f64 v[124:125], v[116:117], -v[132:133]
	v_add_f64 v[250:251], v[118:119], v[146:147]
	v_add_f64 v[84:85], v[134:135], -v[118:119]
	v_add_f64 v[248:249], v[116:117], v[144:145]
	s_waitcnt lgkmcnt(1)
	v_add_f64 v[16:17], v[156:157], v[184:185]
	v_add_f64 v[18:19], v[158:159], v[186:187]
	s_waitcnt lgkmcnt(0)
	v_add_f64 v[216:217], v[184:185], -v[180:181]
	v_add_f64 v[136:137], v[102:103], v[116:117]
	v_add_f64 v[102:103], v[220:221], v[134:135]
	;; [unrolled: 1-line block ×3, first 2 shown]
	v_add_f64 v[126:127], v[118:119], -v[134:135]
	v_add_f64 v[108:109], v[116:117], -v[144:145]
	;; [unrolled: 1-line block ×4, first 2 shown]
	v_add_f64 v[140:141], v[102:103], v[118:119]
	v_add_f64 v[102:103], v[118:119], -v[146:147]
	v_add_f64 v[118:119], v[132:133], -v[148:149]
	v_add_f64 v[132:133], v[136:137], v[144:145]
	v_add_f64 v[144:145], v[150:151], -v[146:147]
	v_add_f64 v[136:137], v[146:147], -v[150:151]
	v_add_f64 v[140:141], v[140:141], v[146:147]
	s_delay_alu instid0(VALU_DEP_4)
	v_add_f64 v[176:177], v[132:133], v[148:149]
	v_add_f64 v[132:133], v[222:223], v[156:157]
	ds_load_b128 v[146:149], v214 offset:4352
	s_waitcnt lgkmcnt(0)
	s_waitcnt_vscnt null, 0x0
	s_barrier
	buffer_gl0_inv
	v_add_f64 v[8:9], v[146:147], v[180:181]
	v_add_f64 v[154:155], v[156:157], -v[146:147]
	v_add_f64 v[14:15], v[148:149], v[182:183]
	v_add_f64 v[164:165], v[158:159], -v[148:149]
	v_add_f64 v[152:153], v[148:149], -v[158:159]
	v_add_f64 v[128:129], v[140:141], v[150:151]
	v_add_f64 v[150:151], v[146:147], -v[156:157]
	v_add_f64 v[140:141], v[146:147], -v[180:181]
	v_add_f64 v[198:199], v[132:133], v[146:147]
	v_add_f64 v[132:133], v[224:225], v[158:159]
	v_add_f64 v[146:147], v[156:157], -v[184:185]
	v_add_f64 v[156:157], v[180:181], -v[184:185]
	s_delay_alu instid0(VALU_DEP_4) | instskip(NEXT) | instid1(VALU_DEP_4)
	v_add_f64 v[198:199], v[198:199], v[180:181]
	v_add_f64 v[200:201], v[132:133], v[148:149]
	v_add_f64 v[132:133], v[148:149], -v[182:183]
	v_add_f64 v[148:149], v[158:159], -v[186:187]
	;; [unrolled: 1-line block ×4, first 2 shown]
	v_add_f64 v[160:161], v[198:199], v[184:185]
	v_add_f64 v[200:201], v[200:201], v[182:183]
	v_fma_f64 v[198:199], v[202:203], -0.5, v[0:1]
	v_fma_f64 v[202:203], v[210:211], -0.5, v[2:3]
	v_add_f64 v[0:1], v[10:11], -v[188:189]
	v_fma_f64 v[210:211], v[178:179], -0.5, v[6:7]
	v_fma_f64 v[184:185], v[194:195], -0.5, v[168:169]
	;; [unrolled: 1-line block ×12, first 2 shown]
	v_add_f64 v[18:19], v[234:235], v[246:247]
	v_add_f64 v[14:15], v[234:235], -v[246:247]
	v_add_f64 v[8:9], v[176:177], v[160:161]
	v_add_f64 v[174:175], v[200:201], v[186:187]
	v_fma_f64 v[200:201], v[206:207], -0.5, v[2:3]
	v_add_f64 v[2:3], v[12:13], -v[190:191]
	v_fma_f64 v[206:207], v[162:163], -0.5, v[6:7]
	v_fma_f64 v[162:163], v[250:251], -0.5, v[220:221]
	v_mov_b32_e32 v220, v130
	v_add_f64 v[4:5], v[176:177], -v[160:161]
	v_add_f64 v[160:161], v[66:67], v[74:75]
	v_fma_f64 v[40:41], v[30:31], s[16:17], v[210:211]
	v_fma_f64 v[186:187], v[238:239], -0.5, v[172:173]
	v_fma_f64 v[190:191], v[242:243], -0.5, v[172:173]
	;; [unrolled: 1-line block ×3, first 2 shown]
	v_add_f64 v[16:17], v[232:233], v[244:245]
	v_add_f64 v[12:13], v[232:233], -v[244:245]
	v_add_f64 v[10:11], v[128:129], v[174:175]
	v_add_f64 v[6:7], v[128:129], -v[174:175]
	v_mul_u32_u24_e32 v128, 10, v220
	s_delay_alu instid0(VALU_DEP_1)
	v_add_lshl_u32 v176, v131, v128, 4
	ds_store_b128 v176, v[226:229]
	ds_store_b128 v176, v[0:3] offset:80
	v_add_f64 v[0:1], v[44:45], v[50:51]
	v_fma_f64 v[44:45], v[38:39], s[16:17], v[208:209]
	v_add_f64 v[2:3], v[46:47], v[52:53]
	v_add_f64 v[128:129], v[62:63], v[72:73]
	v_fma_f64 v[46:47], v[36:37], s[20:21], v[206:207]
	v_fma_f64 v[40:41], v[36:37], s[12:13], v[40:41]
	;; [unrolled: 1-line block ×3, first 2 shown]
	s_delay_alu instid0(VALU_DEP_3) | instskip(NEXT) | instid1(VALU_DEP_3)
	v_fma_f64 v[46:47], v[30:31], s[12:13], v[46:47]
	v_fma_f64 v[40:41], v[54:55], s[14:15], v[40:41]
	s_delay_alu instid0(VALU_DEP_3) | instskip(NEXT) | instid1(VALU_DEP_3)
	v_fma_f64 v[44:45], v[128:129], s[14:15], v[44:45]
	v_fma_f64 v[46:47], v[160:161], s[14:15], v[46:47]
	s_delay_alu instid0(VALU_DEP_3) | instskip(NEXT) | instid1(VALU_DEP_3)
	v_mul_f64 v[60:61], v[40:41], s[16:17]
	v_mul_f64 v[50:51], v[44:45], s[18:19]
	;; [unrolled: 1-line block ×3, first 2 shown]
	s_delay_alu instid0(VALU_DEP_3) | instskip(SKIP_1) | instid1(VALU_DEP_4)
	v_fma_f64 v[60:61], v[42:43], s[14:15], v[60:61]
	v_mul_f64 v[42:43], v[42:43], s[20:21]
	v_fma_f64 v[50:51], v[46:47], s[2:3], v[50:51]
	s_delay_alu instid0(VALU_DEP_4) | instskip(SKIP_2) | instid1(VALU_DEP_2)
	v_fma_f64 v[52:53], v[46:47], s[18:19], v[44:45]
	v_fma_f64 v[44:45], v[24:25], s[16:17], v[198:199]
	v_fma_f64 v[46:47], v[26:27], s[20:21], v[200:201]
	v_fma_f64 v[44:45], v[20:21], s[2:3], v[44:45]
	s_delay_alu instid0(VALU_DEP_2) | instskip(NEXT) | instid1(VALU_DEP_2)
	v_fma_f64 v[46:47], v[22:23], s[12:13], v[46:47]
	v_fma_f64 v[62:63], v[0:1], s[14:15], v[44:45]
	s_delay_alu instid0(VALU_DEP_2) | instskip(NEXT) | instid1(VALU_DEP_2)
	v_fma_f64 v[66:67], v[2:3], s[14:15], v[46:47]
	v_add_f64 v[44:45], v[62:63], v[50:51]
	v_add_f64 v[50:51], v[62:63], -v[50:51]
	v_fma_f64 v[62:63], v[40:41], s[14:15], v[42:43]
	v_fma_f64 v[40:41], v[20:21], s[20:21], v[204:205]
	;; [unrolled: 1-line block ×3, first 2 shown]
	v_add_f64 v[46:47], v[66:67], v[52:53]
	v_add_f64 v[52:53], v[66:67], -v[52:53]
	s_delay_alu instid0(VALU_DEP_4) | instskip(NEXT) | instid1(VALU_DEP_4)
	v_fma_f64 v[40:41], v[24:25], s[2:3], v[40:41]
	v_fma_f64 v[42:43], v[26:27], s[12:13], v[42:43]
	s_delay_alu instid0(VALU_DEP_2) | instskip(NEXT) | instid1(VALU_DEP_2)
	v_fma_f64 v[64:65], v[32:33], s[14:15], v[40:41]
	v_fma_f64 v[66:67], v[34:35], s[14:15], v[42:43]
	s_delay_alu instid0(VALU_DEP_2) | instskip(SKIP_2) | instid1(VALU_DEP_4)
	v_add_f64 v[40:41], v[64:65], v[60:61]
	v_add_f64 v[60:61], v[64:65], -v[60:61]
	v_fma_f64 v[64:65], v[20:21], s[16:17], v[204:205]
	v_add_f64 v[42:43], v[66:67], v[62:63]
	v_add_f64 v[62:63], v[66:67], -v[62:63]
	s_delay_alu instid0(VALU_DEP_3) | instskip(SKIP_1) | instid1(VALU_DEP_2)
	v_fma_f64 v[64:65], v[24:25], s[12:13], v[64:65]
	v_fma_f64 v[24:25], v[24:25], s[20:21], v[198:199]
	;; [unrolled: 1-line block ×4, first 2 shown]
	s_delay_alu instid0(VALU_DEP_3) | instskip(NEXT) | instid1(VALU_DEP_2)
	v_fma_f64 v[20:21], v[20:21], s[12:13], v[24:25]
	v_fma_f64 v[64:65], v[26:27], s[2:3], v[64:65]
	v_fma_f64 v[26:27], v[26:27], s[16:17], v[200:201]
	s_delay_alu instid0(VALU_DEP_3) | instskip(NEXT) | instid1(VALU_DEP_3)
	v_fma_f64 v[0:1], v[0:1], s[14:15], v[20:21]
	v_fma_f64 v[34:35], v[34:35], s[14:15], v[64:65]
	;; [unrolled: 1-line block ×3, first 2 shown]
	s_delay_alu instid0(VALU_DEP_4) | instskip(NEXT) | instid1(VALU_DEP_2)
	v_fma_f64 v[22:23], v[22:23], s[2:3], v[26:27]
	v_fma_f64 v[64:65], v[38:39], s[12:13], v[64:65]
	s_delay_alu instid0(VALU_DEP_2) | instskip(NEXT) | instid1(VALU_DEP_2)
	v_fma_f64 v[2:3], v[2:3], s[14:15], v[22:23]
	v_fma_f64 v[48:49], v[48:49], s[14:15], v[64:65]
	;; [unrolled: 1-line block ×3, first 2 shown]
	s_delay_alu instid0(VALU_DEP_1) | instskip(NEXT) | instid1(VALU_DEP_1)
	v_fma_f64 v[64:65], v[36:37], s[2:3], v[64:65]
	v_fma_f64 v[54:55], v[54:55], s[14:15], v[64:65]
	s_delay_alu instid0(VALU_DEP_4) | instskip(NEXT) | instid1(VALU_DEP_1)
	v_mul_f64 v[64:65], v[48:49], s[14:15]
	v_fma_f64 v[72:73], v[54:55], s[16:17], -v[64:65]
	v_mul_f64 v[54:55], v[54:55], s[14:15]
	s_delay_alu instid0(VALU_DEP_2) | instskip(NEXT) | instid1(VALU_DEP_2)
	v_add_f64 v[64:65], v[32:33], v[72:73]
	v_fma_f64 v[48:49], v[48:49], s[20:21], -v[54:55]
	v_add_f64 v[72:73], v[32:33], -v[72:73]
	v_fma_f64 v[32:33], v[38:39], s[20:21], v[208:209]
	v_fma_f64 v[54:55], v[58:59], s[16:17], v[194:195]
	s_delay_alu instid0(VALU_DEP_4)
	v_add_f64 v[66:67], v[34:35], v[48:49]
	v_add_f64 v[74:75], v[34:35], -v[48:49]
	v_fma_f64 v[34:35], v[36:37], s[16:17], v[206:207]
	v_fma_f64 v[28:29], v[28:29], s[12:13], v[32:33]
	;; [unrolled: 1-line block ×4, first 2 shown]
	s_delay_alu instid0(VALU_DEP_4) | instskip(NEXT) | instid1(VALU_DEP_4)
	v_fma_f64 v[24:25], v[30:31], s[2:3], v[34:35]
	v_fma_f64 v[26:27], v[128:129], s[14:15], v[28:29]
	;; [unrolled: 1-line block ×6, first 2 shown]
	v_mul_f64 v[22:23], v[26:27], s[18:19]
	v_fma_f64 v[24:25], v[98:99], s[16:17], v[188:189]
	v_fma_f64 v[30:31], v[58:59], s[12:13], v[30:31]
	;; [unrolled: 1-line block ×3, first 2 shown]
	s_delay_alu instid0(VALU_DEP_4) | instskip(SKIP_2) | instid1(VALU_DEP_3)
	v_fma_f64 v[22:23], v[20:21], s[2:3], -v[22:23]
	v_mul_f64 v[20:21], v[20:21], s[18:19]
	v_fma_f64 v[24:25], v[86:87], s[2:3], v[24:25]
	v_add_f64 v[36:37], v[0:1], v[22:23]
	s_delay_alu instid0(VALU_DEP_3)
	v_fma_f64 v[20:21], v[26:27], s[12:13], -v[20:21]
	v_fma_f64 v[26:27], v[96:97], s[20:21], v[186:187]
	v_add_f64 v[198:199], v[0:1], -v[22:23]
	v_add_f64 v[22:23], v[114:115], v[122:123]
	v_add_f64 v[0:1], v[80:81], v[92:93]
	v_fma_f64 v[114:115], v[146:147], s[16:17], v[166:167]
	v_add_f64 v[38:39], v[2:3], v[20:21]
	v_add_f64 v[200:201], v[2:3], -v[20:21]
	v_add_f64 v[20:21], v[106:107], v[120:121]
	v_fma_f64 v[26:27], v[90:91], s[12:13], v[26:27]
	v_add_f64 v[2:3], v[76:77], v[94:95]
	s_delay_alu instid0(VALU_DEP_3) | instskip(NEXT) | instid1(VALU_DEP_3)
	v_fma_f64 v[24:25], v[20:21], s[14:15], v[24:25]
	v_fma_f64 v[26:27], v[22:23], s[14:15], v[26:27]
	s_delay_alu instid0(VALU_DEP_3) | instskip(NEXT) | instid1(VALU_DEP_3)
	v_fma_f64 v[30:31], v[2:3], s[14:15], v[30:31]
	v_mul_f64 v[28:29], v[24:25], s[18:19]
	v_mul_f64 v[24:25], v[24:25], s[12:13]
	s_delay_alu instid0(VALU_DEP_2) | instskip(NEXT) | instid1(VALU_DEP_2)
	v_fma_f64 v[28:29], v[26:27], s[2:3], v[28:29]
	v_fma_f64 v[24:25], v[26:27], s[18:19], v[24:25]
	;; [unrolled: 1-line block ×3, first 2 shown]
	s_delay_alu instid0(VALU_DEP_2) | instskip(NEXT) | instid1(VALU_DEP_2)
	v_add_f64 v[94:95], v[30:31], v[24:25]
	v_fma_f64 v[26:27], v[56:57], s[2:3], v[26:27]
	v_add_f64 v[122:123], v[30:31], -v[24:25]
	scratch_load_b64 v[24:25], off, off     ; 8-byte Folded Reload
	v_add_f64 v[30:31], v[104:105], v[112:113]
	v_fma_f64 v[26:27], v[0:1], s[14:15], v[26:27]
	s_delay_alu instid0(VALU_DEP_2) | instskip(NEXT) | instid1(VALU_DEP_2)
	v_fma_f64 v[32:33], v[30:31], s[14:15], v[32:33]
	v_add_f64 v[92:93], v[26:27], v[28:29]
	v_add_f64 v[120:121], v[26:27], -v[28:29]
	scratch_load_b64 v[26:27], off, off offset:8 ; 8-byte Folded Reload
	v_add_f64 v[28:29], v[100:101], v[110:111]
	v_mul_f64 v[48:49], v[32:33], s[16:17]
	ds_store_b128 v176, v[44:47] offset:16
	ds_store_b128 v176, v[40:43] offset:32
	;; [unrolled: 1-line block ×8, first 2 shown]
                                        ; implicit-def: $vgpr60_vgpr61
	v_fma_f64 v[34:35], v[28:29], s[14:15], v[34:35]
	s_delay_alu instid0(VALU_DEP_1) | instskip(SKIP_1) | instid1(VALU_DEP_1)
	v_fma_f64 v[48:49], v[34:35], s[14:15], v[48:49]
	v_mul_f64 v[34:35], v[34:35], s[20:21]
	v_fma_f64 v[32:33], v[32:33], s[14:15], v[34:35]
	v_fma_f64 v[34:35], v[56:57], s[20:21], v[196:197]
	s_delay_alu instid0(VALU_DEP_1) | instskip(SKIP_2) | instid1(VALU_DEP_1)
	v_fma_f64 v[34:35], v[68:69], s[2:3], v[34:35]
	s_waitcnt vmcnt(1)
	v_add_f64 v[24:25], v[24:25], v[82:83]
	v_fma_f64 v[34:35], v[24:25], s[14:15], v[34:35]
	s_waitcnt vmcnt(0)
	v_add_f64 v[26:27], v[26:27], v[78:79]
	s_delay_alu instid0(VALU_DEP_2) | instskip(SKIP_4) | instid1(VALU_DEP_1)
	v_add_f64 v[76:77], v[34:35], v[48:49]
	v_add_f64 v[80:81], v[34:35], -v[48:49]
	v_add_f64 v[34:35], v[164:165], v[180:181]
	v_add_f64 v[48:49], v[150:151], v[156:157]
	v_fma_f64 v[54:55], v[26:27], s[14:15], v[54:55]
	v_add_f64 v[78:79], v[54:55], v[32:33]
	v_add_f64 v[82:83], v[54:55], -v[32:33]
	v_fma_f64 v[32:33], v[56:57], s[16:17], v[196:197]
	s_delay_alu instid0(VALU_DEP_1) | instskip(NEXT) | instid1(VALU_DEP_1)
	v_fma_f64 v[32:33], v[68:69], s[12:13], v[32:33]
	v_fma_f64 v[24:25], v[24:25], s[14:15], v[32:33]
	v_fma_f64 v[32:33], v[58:59], s[20:21], v[194:195]
	s_delay_alu instid0(VALU_DEP_1) | instskip(NEXT) | instid1(VALU_DEP_1)
	v_fma_f64 v[32:33], v[70:71], s[2:3], v[32:33]
	v_fma_f64 v[26:27], v[26:27], s[14:15], v[32:33]
	;; [unrolled: 4-line block ×4, first 2 shown]
	s_delay_alu instid0(VALU_DEP_4) | instskip(NEXT) | instid1(VALU_DEP_1)
	v_mul_f64 v[32:33], v[28:29], s[14:15]
	v_fma_f64 v[32:33], v[30:31], s[16:17], -v[32:33]
	v_mul_f64 v[30:31], v[30:31], s[14:15]
	s_delay_alu instid0(VALU_DEP_2) | instskip(SKIP_2) | instid1(VALU_DEP_4)
	v_add_f64 v[104:105], v[24:25], v[32:33]
	v_add_f64 v[110:111], v[24:25], -v[32:33]
	v_fma_f64 v[24:25], v[98:99], s[20:21], v[188:189]
	v_fma_f64 v[28:29], v[28:29], s[20:21], -v[30:31]
	v_fma_f64 v[30:31], v[96:97], s[16:17], v[186:187]
	v_add_f64 v[32:33], v[154:155], v[216:217]
	v_mov_b32_e32 v155, 0
	v_or_b32_e32 v154, 48, v220
	s_delay_alu instid0(VALU_DEP_1)
	v_cmp_gt_u64_e32 vcc_lo, 60, v[154:155]
	v_fma_f64 v[24:25], v[86:87], s[12:13], v[24:25]
	v_add_f64 v[106:107], v[26:27], v[28:29]
	v_fma_f64 v[30:31], v[90:91], s[2:3], v[30:31]
	v_add_f64 v[112:113], v[26:27], -v[28:29]
	v_fma_f64 v[28:29], v[70:71], s[16:17], v[184:185]
	v_fma_f64 v[26:27], v[68:69], s[20:21], v[182:183]
	;; [unrolled: 1-line block ×4, first 2 shown]
	v_add_f64 v[30:31], v[126:127], v[136:137]
	v_fma_f64 v[28:29], v[58:59], s[2:3], v[28:29]
	v_fma_f64 v[26:27], v[56:57], s[12:13], v[26:27]
	v_add_f64 v[58:59], v[152:153], v[158:159]
	v_mul_f64 v[24:25], v[20:21], s[18:19]
	s_delay_alu instid0(VALU_DEP_4) | instskip(NEXT) | instid1(VALU_DEP_4)
	v_fma_f64 v[2:3], v[2:3], s[14:15], v[28:29]
	v_fma_f64 v[0:1], v[0:1], s[14:15], v[26:27]
	;; [unrolled: 1-line block ×3, first 2 shown]
	v_add_f64 v[28:29], v[124:125], v[134:135]
	v_fma_f64 v[24:25], v[22:23], s[2:3], -v[24:25]
	v_mul_f64 v[22:23], v[22:23], s[18:19]
	s_delay_alu instid0(VALU_DEP_4) | instskip(NEXT) | instid1(VALU_DEP_3)
	v_fma_f64 v[26:27], v[108:109], s[12:13], v[26:27]
	v_add_f64 v[54:55], v[0:1], v[24:25]
	s_delay_alu instid0(VALU_DEP_3) | instskip(SKIP_3) | instid1(VALU_DEP_4)
	v_fma_f64 v[20:21], v[20:21], s[12:13], -v[22:23]
	v_fma_f64 v[22:23], v[146:147], s[20:21], v[166:167]
	v_add_f64 v[68:69], v[0:1], -v[24:25]
	v_add_f64 v[0:1], v[88:89], v[142:143]
	v_add_f64 v[56:57], v[2:3], v[20:21]
	v_add_f64 v[70:71], v[2:3], -v[20:21]
	v_fma_f64 v[20:21], v[148:149], s[16:17], v[168:169]
	v_fma_f64 v[22:23], v[140:141], s[12:13], v[22:23]
	v_add_f64 v[2:3], v[84:85], v[144:145]
	s_delay_alu instid0(VALU_DEP_3) | instskip(NEXT) | instid1(VALU_DEP_3)
	v_fma_f64 v[20:21], v[132:133], s[2:3], v[20:21]
	v_fma_f64 v[22:23], v[34:35], s[14:15], v[22:23]
	s_delay_alu instid0(VALU_DEP_3) | instskip(NEXT) | instid1(VALU_DEP_3)
	v_fma_f64 v[26:27], v[2:3], s[14:15], v[26:27]
	v_fma_f64 v[20:21], v[32:33], s[14:15], v[20:21]
	s_delay_alu instid0(VALU_DEP_1) | instskip(SKIP_1) | instid1(VALU_DEP_2)
	v_mul_f64 v[24:25], v[20:21], s[18:19]
	v_mul_f64 v[20:21], v[20:21], s[12:13]
	v_fma_f64 v[24:25], v[22:23], s[2:3], v[24:25]
	s_delay_alu instid0(VALU_DEP_2) | instskip(SKIP_1) | instid1(VALU_DEP_2)
	v_fma_f64 v[22:23], v[22:23], s[18:19], v[20:21]
	v_fma_f64 v[20:21], v[116:117], s[16:17], v[230:231]
	v_add_f64 v[86:87], v[26:27], v[22:23]
	s_delay_alu instid0(VALU_DEP_2) | instskip(SKIP_2) | instid1(VALU_DEP_3)
	v_fma_f64 v[20:21], v[102:103], s[2:3], v[20:21]
	v_add_f64 v[22:23], v[26:27], -v[22:23]
	v_fma_f64 v[26:27], v[132:133], s[20:21], v[172:173]
	v_fma_f64 v[20:21], v[0:1], s[14:15], v[20:21]
	s_delay_alu instid0(VALU_DEP_2) | instskip(NEXT) | instid1(VALU_DEP_2)
	v_fma_f64 v[26:27], v[148:149], s[2:3], v[26:27]
	v_add_f64 v[84:85], v[20:21], v[24:25]
	v_add_f64 v[20:21], v[20:21], -v[24:25]
	v_fma_f64 v[24:25], v[140:141], s[16:17], v[170:171]
	s_delay_alu instid0(VALU_DEP_4) | instskip(NEXT) | instid1(VALU_DEP_2)
	v_fma_f64 v[26:27], v[48:49], s[14:15], v[26:27]
	v_fma_f64 v[24:25], v[146:147], s[12:13], v[24:25]
	s_delay_alu instid0(VALU_DEP_1) | instskip(NEXT) | instid1(VALU_DEP_1)
	v_fma_f64 v[24:25], v[58:59], s[14:15], v[24:25]
	v_mul_f64 v[88:89], v[24:25], s[16:17]
	s_delay_alu instid0(VALU_DEP_1) | instskip(SKIP_2) | instid1(VALU_DEP_2)
	v_fma_f64 v[96:97], v[26:27], s[14:15], v[88:89]
	v_mul_f64 v[26:27], v[26:27], s[20:21]
	v_fma_f64 v[88:89], v[108:109], s[16:17], v[218:219]
	v_fma_f64 v[26:27], v[24:25], s[14:15], v[26:27]
	;; [unrolled: 1-line block ×3, first 2 shown]
	s_delay_alu instid0(VALU_DEP_3) | instskip(NEXT) | instid1(VALU_DEP_2)
	v_fma_f64 v[88:89], v[118:119], s[12:13], v[88:89]
	v_fma_f64 v[24:25], v[116:117], s[2:3], v[24:25]
	s_delay_alu instid0(VALU_DEP_2) | instskip(NEXT) | instid1(VALU_DEP_2)
	v_fma_f64 v[98:99], v[30:31], s[14:15], v[88:89]
	v_fma_f64 v[24:25], v[28:29], s[14:15], v[24:25]
	s_delay_alu instid0(VALU_DEP_2) | instskip(SKIP_1) | instid1(VALU_DEP_3)
	v_add_f64 v[90:91], v[98:99], v[26:27]
	v_add_f64 v[26:27], v[98:99], -v[26:27]
	v_add_f64 v[88:89], v[24:25], v[96:97]
	v_add_f64 v[24:25], v[24:25], -v[96:97]
	v_fma_f64 v[96:97], v[102:103], s[16:17], v[178:179]
	s_delay_alu instid0(VALU_DEP_1) | instskip(NEXT) | instid1(VALU_DEP_1)
	v_fma_f64 v[96:97], v[116:117], s[12:13], v[96:97]
	v_fma_f64 v[28:29], v[28:29], s[14:15], v[96:97]
	v_fma_f64 v[96:97], v[108:109], s[20:21], v[218:219]
	s_delay_alu instid0(VALU_DEP_1) | instskip(NEXT) | instid1(VALU_DEP_1)
	v_fma_f64 v[96:97], v[118:119], s[2:3], v[96:97]
	v_fma_f64 v[30:31], v[30:31], s[14:15], v[96:97]
	;; [unrolled: 4-line block ×4, first 2 shown]
	s_delay_alu instid0(VALU_DEP_4) | instskip(NEXT) | instid1(VALU_DEP_1)
	v_mul_f64 v[96:97], v[48:49], s[14:15]
	v_fma_f64 v[100:101], v[58:59], s[16:17], -v[96:97]
	v_mul_f64 v[58:59], v[58:59], s[14:15]
	s_delay_alu instid0(VALU_DEP_2) | instskip(NEXT) | instid1(VALU_DEP_2)
	v_add_f64 v[96:97], v[28:29], v[100:101]
	v_fma_f64 v[48:49], v[48:49], s[20:21], -v[58:59]
	v_add_f64 v[28:29], v[28:29], -v[100:101]
	v_fma_f64 v[58:59], v[116:117], s[20:21], v[230:231]
	v_fma_f64 v[100:101], v[118:119], s[16:17], v[162:163]
	s_delay_alu instid0(VALU_DEP_4)
	v_add_f64 v[98:99], v[30:31], v[48:49]
	v_add_f64 v[30:31], v[30:31], -v[48:49]
	v_fma_f64 v[48:49], v[148:149], s[20:21], v[168:169]
	v_fma_f64 v[58:59], v[102:103], s[12:13], v[58:59]
	;; [unrolled: 1-line block ×4, first 2 shown]
	s_delay_alu instid0(VALU_DEP_4) | instskip(SKIP_2) | instid1(VALU_DEP_2)
	v_fma_f64 v[48:49], v[132:133], s[12:13], v[48:49]
	v_or_b32_e32 v133, 16, v220
	v_or_b32_e32 v132, 32, v220
	v_mul_u32_u24_e32 v36, 10, v133
	s_delay_alu instid0(VALU_DEP_1)
	v_add_lshl_u32 v179, v131, v36, 4
	ds_store_b128 v179, v[16:19]
	ds_store_b128 v179, v[92:95] offset:16
	ds_store_b128 v179, v[76:79] offset:32
	;; [unrolled: 1-line block ×9, first 2 shown]
	v_mul_u32_u24_e32 v12, 10, v132
	scratch_store_b32 off, v131, off offset:8 ; 4-byte Folded Spill
                                        ; implicit-def: $vgpr56_vgpr57
	v_add_lshl_u32 v178, v131, v12, 4
	ds_store_b128 v178, v[8:11]
	ds_store_b128 v178, v[84:87] offset:16
	ds_store_b128 v178, v[88:91] offset:32
	;; [unrolled: 1-line block ×3, first 2 shown]
	v_fma_f64 v[32:33], v[32:33], s[14:15], v[48:49]
	v_fma_f64 v[48:49], v[0:1], s[14:15], v[58:59]
	;; [unrolled: 1-line block ×4, first 2 shown]
	s_delay_alu instid0(VALU_DEP_4) | instskip(NEXT) | instid1(VALU_DEP_1)
	v_mul_f64 v[2:3], v[32:33], s[18:19]
	v_fma_f64 v[34:35], v[0:1], s[2:3], -v[2:3]
	v_mul_f64 v[0:1], v[0:1], s[18:19]
	s_load_b64 s[2:3], s[0:1], 0x38
	s_delay_alu instid0(VALU_DEP_1) | instskip(NEXT) | instid1(VALU_DEP_3)
	v_fma_f64 v[100:101], v[32:33], s[12:13], -v[0:1]
	v_add_f64 v[0:1], v[48:49], v[34:35]
	v_add_f64 v[32:33], v[48:49], -v[34:35]
	s_delay_alu instid0(VALU_DEP_3)
	v_add_f64 v[2:3], v[58:59], v[100:101]
	v_add_f64 v[34:35], v[58:59], -v[100:101]
	ds_store_b128 v178, v[0:3] offset:64
	ds_store_b128 v178, v[4:7] offset:80
	;; [unrolled: 1-line block ×6, first 2 shown]
	s_waitcnt lgkmcnt(0)
	s_waitcnt_vscnt null, 0x0
	s_barrier
	buffer_gl0_inv
	scratch_store_b32 off, v138, off        ; 4-byte Folded Spill
	ds_load_b128 v[16:19], v138
	ds_load_b128 v[12:15], v214 offset:256
	ds_load_b128 v[116:119], v214 offset:1920
	;; [unrolled: 1-line block ×23, first 2 shown]
	s_and_saveexec_b32 s0, vcc_lo
	s_cbranch_execz .LBB0_3
; %bb.2:
	ds_load_b128 v[0:3], v214 offset:768
	ds_load_b128 v[4:7], v214 offset:1728
	;; [unrolled: 1-line block ×8, first 2 shown]
.LBB0_3:
	s_or_b32 exec_lo, exec_lo, s0
	v_cmp_gt_u32_e64 s0, 10, v220
	v_add_nc_u32_e32 v128, -10, v220
	s_mov_b32 s12, 0x667f3bcd
	s_mov_b32 s13, 0xbfe6a09e
	;; [unrolled: 1-line block ×4, first 2 shown]
	v_cndmask_b32_e64 v131, v128, v220, s0
	s_delay_alu instid0(VALU_DEP_1) | instskip(SKIP_1) | instid1(VALU_DEP_2)
	v_mul_i32_i24_e32 v128, 0x70, v131
	v_mul_hi_i32_i24_e32 v129, 0x70, v131
	v_add_co_u32 v134, s0, s10, v128
	s_delay_alu instid0(VALU_DEP_1)
	v_add_co_ci_u32_e64 v135, s0, s11, v129, s0
	v_cmp_lt_u32_e64 s0, 9, v220
	s_clause 0x1
	global_load_b128 v[136:139], v[134:135], off
	global_load_b128 v[142:145], v[134:135], off offset:64
	s_waitcnt vmcnt(1) lgkmcnt(15)
	v_mul_f64 v[128:129], v[126:127], v[138:139]
	scratch_store_b128 off, v[136:139], off offset:560 ; 16-byte Folded Spill
	s_waitcnt vmcnt(0)
	scratch_store_b128 off, v[142:145], off offset:648 ; 16-byte Folded Spill
	v_fma_f64 v[129:130], v[124:125], v[136:137], -v[128:129]
	v_mul_f64 v[124:125], v[124:125], v[138:139]
	s_delay_alu instid0(VALU_DEP_1)
	v_fma_f64 v[124:125], v[126:127], v[136:137], v[124:125]
	global_load_b128 v[136:139], v[134:135], off offset:16
	s_waitcnt vmcnt(0)
	v_mul_f64 v[126:127], v[118:119], v[138:139]
	scratch_store_b128 off, v[136:139], off offset:664 ; 16-byte Folded Spill
	v_fma_f64 v[126:127], v[116:117], v[136:137], -v[126:127]
	v_mul_f64 v[116:117], v[116:117], v[138:139]
	s_delay_alu instid0(VALU_DEP_1)
	v_fma_f64 v[116:117], v[118:119], v[136:137], v[116:117]
	global_load_b128 v[136:139], v[134:135], off offset:32
	s_waitcnt vmcnt(0) lgkmcnt(11)
	v_mul_f64 v[118:119], v[122:123], v[138:139]
	scratch_store_b128 off, v[136:139], off offset:616 ; 16-byte Folded Spill
	v_fma_f64 v[118:119], v[120:121], v[136:137], -v[118:119]
	v_mul_f64 v[120:121], v[120:121], v[138:139]
	global_load_b128 v[138:141], v[134:135], off offset:48
	v_fma_f64 v[120:121], v[122:123], v[136:137], v[120:121]
	s_waitcnt vmcnt(0)
	v_mul_f64 v[122:123], v[110:111], v[140:141]
	scratch_store_b128 off, v[138:141], off offset:632 ; 16-byte Folded Spill
	v_fma_f64 v[136:137], v[108:109], v[138:139], -v[122:123]
	v_mul_f64 v[108:109], v[108:109], v[140:141]
	v_cndmask_b32_e64 v123, 0, 0x50, s0
	s_delay_alu instid0(VALU_DEP_1) | instskip(NEXT) | instid1(VALU_DEP_3)
	v_or_b32_e32 v123, v131, v123
	v_fma_f64 v[138:139], v[110:111], v[138:139], v[108:109]
	s_waitcnt lgkmcnt(7)
	v_mul_f64 v[108:109], v[114:115], v[144:145]
	s_delay_alu instid0(VALU_DEP_1)
	v_fma_f64 v[140:141], v[112:113], v[142:143], -v[108:109]
	v_mul_f64 v[108:109], v[112:113], v[144:145]
	global_load_b128 v[110:113], v[134:135], off offset:80
	v_fma_f64 v[142:143], v[114:115], v[142:143], v[108:109]
	s_waitcnt vmcnt(0)
	v_mul_f64 v[108:109], v[102:103], v[112:113]
	scratch_store_b128 off, v[110:113], off offset:680 ; 16-byte Folded Spill
	v_fma_f64 v[144:145], v[100:101], v[110:111], -v[108:109]
	v_mul_f64 v[100:101], v[100:101], v[112:113]
	s_delay_alu instid0(VALU_DEP_1) | instskip(SKIP_3) | instid1(VALU_DEP_1)
	v_fma_f64 v[146:147], v[102:103], v[110:111], v[100:101]
	global_load_b128 v[108:111], v[134:135], off offset:96
	s_waitcnt vmcnt(0) lgkmcnt(3)
	v_mul_f64 v[100:101], v[106:107], v[110:111]
	v_fma_f64 v[134:135], v[104:105], v[108:109], -v[100:101]
	v_mul_f64 v[100:101], v[104:105], v[110:111]
	s_delay_alu instid0(VALU_DEP_2) | instskip(NEXT) | instid1(VALU_DEP_2)
	v_add_f64 v[134:135], v[118:119], -v[134:135]
	v_fma_f64 v[148:149], v[106:107], v[108:109], v[100:101]
	v_mul_lo_u16 v100, v133, 26
	s_delay_alu instid0(VALU_DEP_1) | instskip(NEXT) | instid1(VALU_DEP_1)
	v_lshrrev_b16 v112, 8, v100
	v_mul_lo_u16 v100, v112, 10
	s_delay_alu instid0(VALU_DEP_1) | instskip(NEXT) | instid1(VALU_DEP_1)
	v_sub_nc_u16 v113, v133, v100
	v_and_b32_e32 v100, 0xff, v113
	s_delay_alu instid0(VALU_DEP_1)
	v_mad_u64_u32 v[102:103], null, 0x70, v100, s[10:11]
	global_load_b128 v[104:107], v[102:103], off
	scratch_store_b128 off, v[108:111], off offset:696 ; 16-byte Folded Spill
	v_fma_f64 v[118:119], v[118:119], 2.0, -v[134:135]
	s_waitcnt vmcnt(0)
	scratch_store_b128 off, v[104:107], off offset:712 ; 16-byte Folded Spill
	v_mul_f64 v[100:101], v[98:99], v[106:107]
	s_delay_alu instid0(VALU_DEP_1) | instskip(SKIP_1) | instid1(VALU_DEP_1)
	v_fma_f64 v[100:101], v[96:97], v[104:105], -v[100:101]
	v_mul_f64 v[96:97], v[96:97], v[106:107]
	v_fma_f64 v[96:97], v[98:99], v[104:105], v[96:97]
	global_load_b128 v[104:107], v[102:103], off offset:16
	s_waitcnt vmcnt(0)
	v_mul_f64 v[98:99], v[90:91], v[106:107]
	scratch_store_b128 off, v[104:107], off offset:728 ; 16-byte Folded Spill
	v_fma_f64 v[98:99], v[88:89], v[104:105], -v[98:99]
	v_mul_f64 v[88:89], v[88:89], v[106:107]
	s_delay_alu instid0(VALU_DEP_1)
	v_fma_f64 v[88:89], v[90:91], v[104:105], v[88:89]
	global_load_b128 v[104:107], v[102:103], off offset:32
	s_waitcnt vmcnt(0)
	v_mul_f64 v[90:91], v[94:95], v[106:107]
	scratch_store_b128 off, v[104:107], off offset:744 ; 16-byte Folded Spill
	v_fma_f64 v[90:91], v[92:93], v[104:105], -v[90:91]
	v_mul_f64 v[92:93], v[92:93], v[106:107]
	s_delay_alu instid0(VALU_DEP_1)
	;; [unrolled: 8-line block ×3, first 2 shown]
	v_fma_f64 v[80:81], v[82:83], v[104:105], v[80:81]
	global_load_b128 v[104:107], v[102:103], off offset:64
	s_waitcnt vmcnt(0)
	v_mul_f64 v[82:83], v[86:87], v[106:107]
	scratch_store_b128 off, v[104:107], off offset:760 ; 16-byte Folded Spill
	v_fma_f64 v[82:83], v[84:85], v[104:105], -v[82:83]
	v_mul_f64 v[84:85], v[84:85], v[106:107]
	s_delay_alu instid0(VALU_DEP_2) | instskip(NEXT) | instid1(VALU_DEP_2)
	v_add_f64 v[82:83], v[100:101], -v[82:83]
	v_fma_f64 v[84:85], v[86:87], v[104:105], v[84:85]
	global_load_b128 v[104:107], v[102:103], off offset:80
	v_add_f64 v[84:85], v[96:97], -v[84:85]
	s_waitcnt vmcnt(0)
	v_mul_f64 v[86:87], v[74:75], v[106:107]
	scratch_store_b128 off, v[104:107], off offset:808 ; 16-byte Folded Spill
	v_fma_f64 v[86:87], v[72:73], v[104:105], -v[86:87]
	v_mul_f64 v[72:73], v[72:73], v[106:107]
	s_delay_alu instid0(VALU_DEP_2) | instskip(NEXT) | instid1(VALU_DEP_2)
	v_add_f64 v[86:87], v[98:99], -v[86:87]
	v_fma_f64 v[74:75], v[74:75], v[104:105], v[72:73]
	global_load_b128 v[104:107], v[102:103], off offset:96
	s_waitcnt vmcnt(0) lgkmcnt(1)
	v_mul_f64 v[72:73], v[78:79], v[106:107]
	scratch_store_b128 off, v[104:107], off offset:792 ; 16-byte Folded Spill
	v_fma_f64 v[102:103], v[76:77], v[104:105], -v[72:73]
	v_mul_f64 v[72:73], v[76:77], v[106:107]
	s_delay_alu instid0(VALU_DEP_2) | instskip(NEXT) | instid1(VALU_DEP_2)
	v_add_f64 v[102:103], v[90:91], -v[102:103]
	v_fma_f64 v[76:77], v[78:79], v[104:105], v[72:73]
	v_mul_lo_u16 v72, v132, 26
	s_delay_alu instid0(VALU_DEP_1) | instskip(NEXT) | instid1(VALU_DEP_1)
	v_lshrrev_b16 v114, 8, v72
	v_mul_lo_u16 v72, v114, 10
	s_delay_alu instid0(VALU_DEP_1) | instskip(SKIP_1) | instid1(VALU_DEP_2)
	v_sub_nc_u16 v72, v132, v72
	v_add_f64 v[132:133], v[126:127], -v[144:145]
	v_and_b32_e32 v115, 0xff, v72
	s_delay_alu instid0(VALU_DEP_1)
	v_mad_u64_u32 v[108:109], null, 0x70, v115, s[10:11]
	s_clause 0x1
	global_load_b128 v[104:107], v[108:109], off
	global_load_b128 v[150:153], v[108:109], off offset:80
	v_fma_f64 v[126:127], v[126:127], 2.0, -v[132:133]
	s_waitcnt vmcnt(1)
	v_mul_f64 v[72:73], v[70:71], v[106:107]
	scratch_store_b128 off, v[104:107], off offset:824 ; 16-byte Folded Spill
	s_waitcnt vmcnt(0)
	scratch_store_b128 off, v[150:153], off offset:920 ; 16-byte Folded Spill
	v_fma_f64 v[72:73], v[68:69], v[104:105], -v[72:73]
	v_mul_f64 v[68:69], v[68:69], v[106:107]
	s_delay_alu instid0(VALU_DEP_1)
	v_fma_f64 v[68:69], v[70:71], v[104:105], v[68:69]
	global_load_b128 v[104:107], v[108:109], off offset:16
	s_waitcnt vmcnt(0)
	v_mul_f64 v[70:71], v[66:67], v[106:107]
	scratch_store_b128 off, v[104:107], off offset:856 ; 16-byte Folded Spill
	v_fma_f64 v[70:71], v[64:65], v[104:105], -v[70:71]
	v_mul_f64 v[64:65], v[64:65], v[106:107]
	s_delay_alu instid0(VALU_DEP_1)
	v_fma_f64 v[64:65], v[66:67], v[104:105], v[64:65]
	global_load_b128 v[104:107], v[108:109], off offset:32
	s_waitcnt vmcnt(0)
	v_mul_f64 v[66:67], v[54:55], v[106:107]
	;; [unrolled: 8-line block ×3, first 2 shown]
	scratch_store_b128 off, v[104:107], off offset:888 ; 16-byte Folded Spill
	v_fma_f64 v[54:55], v[48:49], v[104:105], -v[54:55]
	v_mul_f64 v[48:49], v[48:49], v[106:107]
	s_delay_alu instid0(VALU_DEP_2) | instskip(NEXT) | instid1(VALU_DEP_2)
	v_add_f64 v[54:55], v[8:9], -v[54:55]
	v_fma_f64 v[50:51], v[50:51], v[104:105], v[48:49]
	global_load_b128 v[104:107], v[108:109], off offset:64
	v_add_f64 v[50:51], v[10:11], -v[50:51]
	s_waitcnt vmcnt(0)
	v_mul_f64 v[48:49], v[46:47], v[106:107]
	scratch_store_b128 off, v[104:107], off offset:872 ; 16-byte Folded Spill
	v_fma_f64 v[48:49], v[44:45], v[104:105], -v[48:49]
	v_mul_f64 v[44:45], v[44:45], v[106:107]
	s_delay_alu instid0(VALU_DEP_1) | instskip(SKIP_1) | instid1(VALU_DEP_2)
	v_fma_f64 v[78:79], v[46:47], v[104:105], v[44:45]
	v_mul_f64 v[44:45], v[42:43], v[152:153]
	v_add_f64 v[78:79], v[68:69], -v[78:79]
	s_delay_alu instid0(VALU_DEP_2) | instskip(SKIP_1) | instid1(VALU_DEP_2)
	v_fma_f64 v[104:105], v[40:41], v[150:151], -v[44:45]
	v_mul_f64 v[40:41], v[40:41], v[152:153]
	v_add_f64 v[104:105], v[70:71], -v[104:105]
	s_delay_alu instid0(VALU_DEP_2) | instskip(SKIP_3) | instid1(VALU_DEP_2)
	v_fma_f64 v[106:107], v[42:43], v[150:151], v[40:41]
	global_load_b128 v[42:45], v[108:109], off offset:96
	v_add_f64 v[158:159], v[50:51], v[104:105]
	v_add_f64 v[106:107], v[64:65], -v[106:107]
	v_fma_f64 v[162:163], v[50:51], 2.0, -v[158:159]
	s_delay_alu instid0(VALU_DEP_2) | instskip(NEXT) | instid1(VALU_DEP_1)
	v_add_f64 v[156:157], v[54:55], -v[106:107]
	v_fma_f64 v[160:161], v[54:55], 2.0, -v[156:157]
	s_waitcnt vmcnt(0) lgkmcnt(0)
	v_mul_f64 v[40:41], v[38:39], v[44:45]
	s_delay_alu instid0(VALU_DEP_1) | instskip(SKIP_1) | instid1(VALU_DEP_2)
	v_fma_f64 v[108:109], v[36:37], v[42:43], -v[40:41]
	v_mul_f64 v[36:37], v[36:37], v[44:45]
	v_add_f64 v[108:109], v[66:67], -v[108:109]
	s_delay_alu instid0(VALU_DEP_2) | instskip(SKIP_1) | instid1(VALU_DEP_1)
	v_fma_f64 v[110:111], v[38:39], v[42:43], v[36:37]
	v_mul_lo_u16 v36, v154, 26
	v_lshrrev_b16 v122, 8, v36
	s_delay_alu instid0(VALU_DEP_1) | instskip(NEXT) | instid1(VALU_DEP_1)
	v_mul_lo_u16 v36, v122, 10
	v_sub_nc_u16 v36, v154, v36
	v_add_f64 v[154:155], v[72:73], -v[48:49]
	s_delay_alu instid0(VALU_DEP_2)
	v_and_b32_e32 v36, 0xff, v36
	s_clause 0x1
	scratch_store_b128 off, v[42:45], off offset:904
	scratch_store_b32 off, v36, off offset:556
	v_mad_u64_u32 v[44:45], null, 0x70, v36, s[10:11]
	s_clause 0x1
	global_load_b128 v[38:41], v[44:45], off
	global_load_b128 v[150:153], v[44:45], off offset:16
	v_add_f64 v[110:111], v[52:53], -v[110:111]
	s_delay_alu instid0(VALU_DEP_1)
	v_add_f64 v[48:49], v[154:155], -v[110:111]
	s_waitcnt vmcnt(1)
	v_mul_f64 v[36:37], v[6:7], v[40:41]
	scratch_store_b128 off, v[38:41], off offset:1080 ; 16-byte Folded Spill
	s_waitcnt vmcnt(0)
	scratch_store_b128 off, v[150:153], off offset:1096 ; 16-byte Folded Spill
	v_fma_f64 v[36:37], v[4:5], v[38:39], -v[36:37]
	v_mul_f64 v[4:5], v[4:5], v[40:41]
	s_delay_alu instid0(VALU_DEP_1)
	v_fma_f64 v[38:39], v[6:7], v[38:39], v[4:5]
	v_mul_f64 v[4:5], v[22:23], v[152:153]
	v_add_f64 v[6:7], v[18:19], -v[138:139]
	v_add_f64 v[138:139], v[129:130], -v[140:141]
	;; [unrolled: 1-line block ×4, first 2 shown]
	v_fma_f64 v[40:41], v[20:21], v[150:151], -v[4:5]
	v_mul_f64 v[4:5], v[20:21], v[152:153]
	v_fma_f64 v[128:129], v[129:130], 2.0, -v[138:139]
	v_fma_f64 v[18:19], v[18:19], 2.0, -v[6:7]
	v_add_f64 v[148:149], v[138:139], -v[142:143]
	v_fma_f64 v[120:121], v[120:121], 2.0, -v[142:143]
	v_fma_f64 v[20:21], v[22:23], v[150:151], v[4:5]
	global_load_b128 v[150:153], v[44:45], off offset:32
	s_waitcnt vmcnt(0)
	v_mul_f64 v[4:5], v[26:27], v[152:153]
	scratch_store_b128 off, v[150:153], off offset:1112 ; 16-byte Folded Spill
	v_fma_f64 v[42:43], v[24:25], v[150:151], -v[4:5]
	v_mul_f64 v[4:5], v[24:25], v[152:153]
	s_delay_alu instid0(VALU_DEP_1)
	v_fma_f64 v[22:23], v[26:27], v[150:151], v[4:5]
	global_load_b128 v[150:153], v[44:45], off offset:48
	s_waitcnt vmcnt(0)
	v_mul_f64 v[4:5], v[30:31], v[152:153]
	scratch_store_b128 off, v[150:153], off offset:1128 ; 16-byte Folded Spill
	v_fma_f64 v[24:25], v[28:29], v[150:151], -v[4:5]
	v_mul_f64 v[4:5], v[28:29], v[152:153]
	s_delay_alu instid0(VALU_DEP_1)
	v_fma_f64 v[26:27], v[30:31], v[150:151], v[4:5]
	global_load_b128 v[150:153], v[44:45], off offset:64
	s_waitcnt vmcnt(0)
	v_mul_f64 v[4:5], v[34:35], v[152:153]
	scratch_store_b128 off, v[150:153], off offset:1144 ; 16-byte Folded Spill
	v_fma_f64 v[28:29], v[32:33], v[150:151], -v[4:5]
	v_mul_f64 v[4:5], v[32:33], v[152:153]
	s_delay_alu instid0(VALU_DEP_1) | instskip(SKIP_3) | instid1(VALU_DEP_1)
	v_fma_f64 v[30:31], v[34:35], v[150:151], v[4:5]
	global_load_b128 v[150:153], v[44:45], off offset:80
	s_waitcnt vmcnt(0)
	v_mul_f64 v[4:5], v[58:59], v[152:153]
	v_fma_f64 v[32:33], v[56:57], v[150:151], -v[4:5]
	v_mul_f64 v[4:5], v[56:57], v[152:153]
	s_delay_alu instid0(VALU_DEP_1)
	v_fma_f64 v[34:35], v[58:59], v[150:151], v[4:5]
	global_load_b128 v[56:59], v[44:45], off offset:96
	scratch_store_b128 off, v[150:153], off offset:1160 ; 16-byte Folded Spill
	v_add_f64 v[150:151], v[140:141], v[134:135]
	v_fma_f64 v[152:153], v[10:11], 2.0, -v[50:51]
	v_fma_f64 v[50:51], v[154:155], 2.0, -v[48:49]
	s_waitcnt vmcnt(0)
	scratch_store_b128 off, v[56:59], off offset:1176 ; 16-byte Folded Spill
	v_mul_f64 v[4:5], v[62:63], v[58:59]
	s_delay_alu instid0(VALU_DEP_1) | instskip(SKIP_1) | instid1(VALU_DEP_1)
	v_fma_f64 v[44:45], v[60:61], v[56:57], -v[4:5]
	v_mul_f64 v[4:5], v[60:61], v[58:59]
	v_fma_f64 v[46:47], v[62:63], v[56:57], v[4:5]
	v_add_f64 v[4:5], v[16:17], -v[136:137]
	v_add_f64 v[136:137], v[116:117], -v[146:147]
	v_add_f64 v[146:147], v[6:7], v[132:133]
	v_fma_f64 v[132:133], v[124:125], 2.0, -v[140:141]
	s_delay_alu instid0(VALU_DEP_4) | instskip(NEXT) | instid1(VALU_DEP_4)
	v_fma_f64 v[16:17], v[16:17], 2.0, -v[4:5]
	v_add_f64 v[144:145], v[4:5], -v[136:137]
	v_fma_f64 v[116:117], v[116:117], 2.0, -v[136:137]
	v_fma_f64 v[58:59], v[150:151], s[14:15], v[146:147]
	v_add_f64 v[120:121], v[132:133], -v[120:121]
	v_add_f64 v[136:137], v[128:129], -v[118:119]
	;; [unrolled: 1-line block ×3, first 2 shown]
	scratch_load_b32 v127, off, off offset:8 ; 4-byte Folded Reload
	v_fma_f64 v[56:57], v[148:149], s[14:15], v[144:145]
	v_add_f64 v[134:135], v[18:19], -v[116:117]
	v_fma_f64 v[62:63], v[148:149], s[14:15], v[58:59]
	v_fma_f64 v[58:59], v[6:7], 2.0, -v[146:147]
	v_fma_f64 v[6:7], v[138:139], 2.0, -v[148:149]
	s_waitcnt vmcnt(0)
	s_waitcnt_vscnt null, 0x0
	s_barrier
	buffer_gl0_inv
	v_add_f64 v[138:139], v[88:89], -v[74:75]
	v_add_f64 v[116:117], v[130:131], -v[120:121]
	v_fma_f64 v[60:61], v[150:151], s[12:13], v[56:57]
	v_add_f64 v[118:119], v[134:135], v[136:137]
	v_fma_f64 v[56:57], v[4:5], 2.0, -v[144:145]
	v_fma_f64 v[4:5], v[140:141], 2.0, -v[150:151]
	v_add_f64 v[140:141], v[92:93], -v[76:77]
	v_add_f64 v[76:77], v[84:85], v[102:103]
	v_fma_f64 v[125:126], v[134:135], 2.0, -v[118:119]
	v_fma_f64 v[148:149], v[6:7], s[12:13], v[56:57]
	v_fma_f64 v[150:151], v[4:5], s[12:13], v[58:59]
	v_add_f64 v[74:75], v[82:83], -v[140:141]
	s_delay_alu instid0(VALU_DEP_3) | instskip(NEXT) | instid1(VALU_DEP_3)
	v_fma_f64 v[4:5], v[4:5], s[12:13], v[148:149]
	v_fma_f64 v[6:7], v[6:7], s[14:15], v[150:151]
	v_fma_f64 v[150:151], v[8:9], 2.0, -v[54:55]
	v_fma_f64 v[8:9], v[48:49], s[14:15], v[156:157]
	v_fma_f64 v[54:55], v[50:51], s[12:13], v[160:161]
	v_add_lshl_u32 v164, v127, v123, 4
	v_fma_f64 v[123:124], v[130:131], 2.0, -v[116:117]
	ds_store_b128 v164, v[116:119] offset:960
	ds_store_b128 v164, v[60:63] offset:1120
	v_fma_f64 v[116:117], v[144:145], 2.0, -v[60:61]
	v_fma_f64 v[118:119], v[146:147], 2.0, -v[62:63]
	v_add_f64 v[60:61], v[12:13], -v[94:95]
	v_add_f64 v[62:63], v[14:15], -v[80:81]
	ds_store_b128 v164, v[123:126] offset:320
	ds_store_b128 v164, v[116:119] offset:480
	v_add_f64 v[142:143], v[60:61], -v[138:139]
	v_add_f64 v[144:145], v[62:63], v[86:87]
	v_fma_f64 v[94:95], v[14:15], 2.0, -v[62:63]
	v_fma_f64 v[80:81], v[12:13], 2.0, -v[60:61]
	s_delay_alu instid0(VALU_DEP_4) | instskip(NEXT) | instid1(VALU_DEP_4)
	v_fma_f64 v[146:147], v[60:61], 2.0, -v[142:143]
	v_fma_f64 v[14:15], v[76:77], s[14:15], v[144:145]
	v_fma_f64 v[148:149], v[62:63], 2.0, -v[144:145]
	v_fma_f64 v[62:63], v[82:83], 2.0, -v[74:75]
	v_fma_f64 v[12:13], v[74:75], s[14:15], v[142:143]
	v_fma_f64 v[60:61], v[84:85], 2.0, -v[76:77]
	v_fma_f64 v[14:15], v[74:75], s[14:15], v[14:15]
	s_delay_alu instid0(VALU_DEP_4) | instskip(NEXT) | instid1(VALU_DEP_4)
	v_fma_f64 v[74:75], v[62:63], s[12:13], v[146:147]
	v_fma_f64 v[12:13], v[76:77], s[12:13], v[12:13]
	s_delay_alu instid0(VALU_DEP_4) | instskip(NEXT) | instid1(VALU_DEP_3)
	v_fma_f64 v[76:77], v[60:61], s[12:13], v[148:149]
	v_fma_f64 v[60:61], v[60:61], s[12:13], v[74:75]
	v_add_f64 v[74:75], v[78:79], v[108:109]
	s_delay_alu instid0(VALU_DEP_3) | instskip(SKIP_2) | instid1(VALU_DEP_4)
	v_fma_f64 v[62:63], v[62:63], s[14:15], v[76:77]
	v_fma_f64 v[76:77], v[18:19], 2.0, -v[134:135]
	v_fma_f64 v[18:19], v[132:133], 2.0, -v[120:121]
	v_fma_f64 v[10:11], v[74:75], s[14:15], v[158:159]
	v_fma_f64 v[8:9], v[74:75], s[12:13], v[8:9]
	s_delay_alu instid0(VALU_DEP_3) | instskip(NEXT) | instid1(VALU_DEP_3)
	v_add_f64 v[18:19], v[76:77], -v[18:19]
	v_fma_f64 v[10:11], v[48:49], s[14:15], v[10:11]
	v_fma_f64 v[48:49], v[78:79], 2.0, -v[74:75]
	s_delay_alu instid0(VALU_DEP_3) | instskip(NEXT) | instid1(VALU_DEP_2)
	v_fma_f64 v[76:77], v[76:77], 2.0, -v[18:19]
	v_fma_f64 v[74:75], v[48:49], s[12:13], v[162:163]
	v_fma_f64 v[48:49], v[48:49], s[12:13], v[54:55]
	v_fma_f64 v[54:55], v[16:17], 2.0, -v[130:131]
	v_fma_f64 v[16:17], v[128:129], 2.0, -v[136:137]
	s_delay_alu instid0(VALU_DEP_4) | instskip(NEXT) | instid1(VALU_DEP_2)
	v_fma_f64 v[50:51], v[50:51], s[14:15], v[74:75]
	v_add_f64 v[16:17], v[54:55], -v[16:17]
	s_delay_alu instid0(VALU_DEP_1)
	v_fma_f64 v[74:75], v[54:55], 2.0, -v[16:17]
	ds_store_b128 v164, v[16:19] offset:640
	v_fma_f64 v[16:17], v[56:57], 2.0, -v[4:5]
	v_fma_f64 v[18:19], v[58:59], 2.0, -v[6:7]
	ds_store_b128 v164, v[4:7] offset:800
	ds_store_b128 v164, v[74:77]
	v_fma_f64 v[4:5], v[98:99], 2.0, -v[86:87]
	v_fma_f64 v[6:7], v[88:89], 2.0, -v[138:139]
	;; [unrolled: 1-line block ×3, first 2 shown]
	ds_store_b128 v164, v[16:19] offset:160
	v_fma_f64 v[56:57], v[96:97], 2.0, -v[84:85]
	v_fma_f64 v[16:17], v[92:93], 2.0, -v[140:141]
	;; [unrolled: 1-line block ×3, first 2 shown]
	v_mul_lo_u16 v58, 0x50, v112
	scratch_store_b32 off, v164, off offset:936 ; 4-byte Folded Spill
	v_or_b32_e32 v84, v58, v113
	s_delay_alu instid0(VALU_DEP_1) | instskip(NEXT) | instid1(VALU_DEP_1)
	v_and_b32_e32 v84, 0xff, v84
	v_add_lshl_u32 v84, v127, v84, 4
	v_add_f64 v[58:59], v[80:81], -v[4:5]
	v_add_f64 v[74:75], v[94:95], -v[6:7]
	;; [unrolled: 1-line block ×4, first 2 shown]
	s_delay_alu instid0(VALU_DEP_2) | instskip(NEXT) | instid1(VALU_DEP_2)
	v_add_f64 v[4:5], v[58:59], -v[76:77]
	v_add_f64 v[6:7], v[74:75], v[82:83]
	s_delay_alu instid0(VALU_DEP_2) | instskip(NEXT) | instid1(VALU_DEP_2)
	v_fma_f64 v[16:17], v[58:59], 2.0, -v[4:5]
	v_fma_f64 v[18:19], v[74:75], 2.0, -v[6:7]
	;; [unrolled: 1-line block ×4, first 2 shown]
	ds_store_b128 v84, v[16:19] offset:320
	v_fma_f64 v[16:17], v[142:143], 2.0, -v[12:13]
	v_fma_f64 v[18:19], v[144:145], 2.0, -v[14:15]
	ds_store_b128 v84, v[16:19] offset:480
	v_fma_f64 v[16:17], v[54:55], 2.0, -v[82:83]
	v_fma_f64 v[18:19], v[56:57], 2.0, -v[76:77]
	s_delay_alu instid0(VALU_DEP_2) | instskip(NEXT) | instid1(VALU_DEP_2)
	v_add_f64 v[16:17], v[58:59], -v[16:17]
	v_add_f64 v[18:19], v[74:75], -v[18:19]
	s_delay_alu instid0(VALU_DEP_2) | instskip(NEXT) | instid1(VALU_DEP_2)
	v_fma_f64 v[54:55], v[58:59], 2.0, -v[16:17]
	v_fma_f64 v[56:57], v[74:75], 2.0, -v[18:19]
	ds_store_b128 v84, v[16:19] offset:640
	v_fma_f64 v[16:17], v[146:147], 2.0, -v[60:61]
	v_fma_f64 v[18:19], v[148:149], 2.0, -v[62:63]
	ds_store_b128 v84, v[60:63] offset:800
	ds_store_b128 v84, v[4:7] offset:960
	;; [unrolled: 1-line block ×3, first 2 shown]
	ds_store_b128 v84, v[54:57]
	v_fma_f64 v[4:5], v[70:71], 2.0, -v[104:105]
	v_fma_f64 v[6:7], v[64:65], 2.0, -v[106:107]
	;; [unrolled: 1-line block ×4, first 2 shown]
	scratch_store_b32 off, v84, off offset:1056 ; 4-byte Folded Spill
	ds_store_b128 v84, v[16:19] offset:160
	v_fma_f64 v[16:17], v[66:67], 2.0, -v[108:109]
	v_fma_f64 v[18:19], v[52:53], 2.0, -v[110:111]
	v_add_f64 v[52:53], v[150:151], -v[4:5]
	v_add_f64 v[54:55], v[152:153], -v[6:7]
	s_delay_alu instid0(VALU_DEP_4) | instskip(NEXT) | instid1(VALU_DEP_4)
	v_add_f64 v[16:17], v[12:13], -v[16:17]
	v_add_f64 v[18:19], v[14:15], -v[18:19]
	s_delay_alu instid0(VALU_DEP_4) | instskip(NEXT) | instid1(VALU_DEP_4)
	v_fma_f64 v[56:57], v[150:151], 2.0, -v[52:53]
	v_fma_f64 v[58:59], v[152:153], 2.0, -v[54:55]
	s_delay_alu instid0(VALU_DEP_4) | instskip(NEXT) | instid1(VALU_DEP_4)
	v_fma_f64 v[4:5], v[12:13], 2.0, -v[16:17]
	v_fma_f64 v[6:7], v[14:15], 2.0, -v[18:19]
	s_delay_alu instid0(VALU_DEP_2) | instskip(NEXT) | instid1(VALU_DEP_2)
	v_add_f64 v[4:5], v[56:57], -v[4:5]
	v_add_f64 v[6:7], v[58:59], -v[6:7]
	s_delay_alu instid0(VALU_DEP_2) | instskip(NEXT) | instid1(VALU_DEP_2)
	v_fma_f64 v[12:13], v[56:57], 2.0, -v[4:5]
	v_fma_f64 v[14:15], v[58:59], 2.0, -v[6:7]
	v_and_b32_e32 v56, 0xffff, v114
	s_delay_alu instid0(VALU_DEP_1) | instskip(NEXT) | instid1(VALU_DEP_1)
	v_mul_u32_u24_e32 v56, 0x50, v56
	v_or_b32_e32 v56, v56, v115
	s_delay_alu instid0(VALU_DEP_1)
	v_add_lshl_u32 v56, v127, v56, 4
	ds_store_b128 v56, v[12:15]
	v_fma_f64 v[12:13], v[160:161], 2.0, -v[48:49]
	v_fma_f64 v[14:15], v[162:163], 2.0, -v[50:51]
	ds_store_b128 v56, v[12:15] offset:160
	v_add_f64 v[12:13], v[52:53], -v[18:19]
	v_add_f64 v[14:15], v[54:55], v[16:17]
	s_delay_alu instid0(VALU_DEP_2) | instskip(NEXT) | instid1(VALU_DEP_2)
	v_fma_f64 v[16:17], v[52:53], 2.0, -v[12:13]
	v_fma_f64 v[18:19], v[54:55], 2.0, -v[14:15]
	ds_store_b128 v56, v[16:19] offset:320
	v_fma_f64 v[16:17], v[156:157], 2.0, -v[8:9]
	v_fma_f64 v[18:19], v[158:159], 2.0, -v[10:11]
	ds_store_b128 v56, v[16:19] offset:480
	ds_store_b128 v56, v[4:7] offset:640
	;; [unrolled: 1-line block ×4, first 2 shown]
	v_add_f64 v[18:19], v[2:3], -v[26:27]
	ds_store_b128 v56, v[8:11] offset:1120
	v_add_f64 v[10:11], v[0:1], -v[24:25]
	v_add_f64 v[4:5], v[40:41], -v[32:33]
	;; [unrolled: 1-line block ×6, first 2 shown]
	v_fma_f64 v[6:7], v[2:3], 2.0, -v[18:19]
	v_add_f64 v[2:3], v[20:21], -v[34:35]
	v_fma_f64 v[0:1], v[0:1], 2.0, -v[10:11]
	v_fma_f64 v[16:17], v[40:41], 2.0, -v[4:5]
	v_add_f64 v[4:5], v[18:19], v[4:5]
	v_fma_f64 v[34:35], v[42:43], 2.0, -v[8:9]
	v_add_f64 v[28:29], v[24:25], -v[12:13]
	v_add_f64 v[30:31], v[26:27], v[8:9]
	v_fma_f64 v[22:23], v[22:23], 2.0, -v[12:13]
	v_fma_f64 v[14:15], v[36:37], 2.0, -v[24:25]
	;; [unrolled: 1-line block ×3, first 2 shown]
	v_add_f64 v[2:3], v[10:11], -v[2:3]
	v_fma_f64 v[20:21], v[38:39], 2.0, -v[26:27]
	v_fma_f64 v[12:13], v[30:31], s[14:15], v[4:5]
	s_delay_alu instid0(VALU_DEP_3) | instskip(NEXT) | instid1(VALU_DEP_3)
	v_fma_f64 v[8:9], v[28:29], s[14:15], v[2:3]
	v_add_f64 v[22:23], v[20:21], -v[22:23]
	s_delay_alu instid0(VALU_DEP_3) | instskip(SKIP_1) | instid1(VALU_DEP_4)
	v_fma_f64 v[42:43], v[28:29], s[14:15], v[12:13]
	v_add_f64 v[12:13], v[6:7], -v[32:33]
	v_fma_f64 v[40:41], v[30:31], s[12:13], v[8:9]
	v_add_f64 v[8:9], v[0:1], -v[16:17]
	v_add_f64 v[16:17], v[14:15], -v[34:35]
	s_delay_alu instid0(VALU_DEP_2) | instskip(NEXT) | instid1(VALU_DEP_2)
	v_add_f64 v[32:33], v[8:9], -v[22:23]
	v_add_f64 v[34:35], v[12:13], v[16:17]
	s_clause 0x1
	scratch_store_b128 off, v[40:43], off offset:16
	scratch_store_b128 off, v[32:35], off offset:32
	v_and_b32_e32 v32, 0xffff, v122
	s_clause 0x1
	scratch_store_b32 off, v56, off offset:1060
	scratch_store_b32 off, v32, off offset:940
	s_and_saveexec_b32 s0, vcc_lo
	s_cbranch_execz .LBB0_5
; %bb.4:
	v_fma_f64 v[32:33], v[18:19], 2.0, -v[4:5]
	v_fma_f64 v[18:19], v[26:27], 2.0, -v[30:31]
	;; [unrolled: 1-line block ×7, first 2 shown]
	s_clause 0x1
	scratch_load_b128 v[38:41], off, off offset:32
	scratch_load_b128 v[34:37], off, off offset:16
	v_fma_f64 v[6:7], v[6:7], 2.0, -v[12:13]
	v_fma_f64 v[20:21], v[18:19], s[12:13], v[32:33]
	v_fma_f64 v[22:23], v[24:25], s[12:13], v[26:27]
	v_add_f64 v[14:15], v[0:1], -v[14:15]
	s_delay_alu instid0(VALU_DEP_4) | instskip(NEXT) | instid1(VALU_DEP_4)
	v_add_f64 v[16:17], v[6:7], -v[10:11]
	v_fma_f64 v[20:21], v[24:25], s[14:15], v[20:21]
	s_delay_alu instid0(VALU_DEP_4) | instskip(NEXT) | instid1(VALU_DEP_4)
	v_fma_f64 v[18:19], v[18:19], s[12:13], v[22:23]
	v_fma_f64 v[22:23], v[0:1], 2.0, -v[14:15]
	s_clause 0x1
	scratch_load_b32 v0, off, off offset:940
	scratch_load_b32 v1, off, off offset:556
	v_fma_f64 v[24:25], v[6:7], 2.0, -v[16:17]
	v_fma_f64 v[28:29], v[32:33], 2.0, -v[20:21]
	;; [unrolled: 1-line block ×3, first 2 shown]
	s_waitcnt vmcnt(3)
	v_fma_f64 v[10:11], v[12:13], 2.0, -v[40:41]
	v_fma_f64 v[8:9], v[8:9], 2.0, -v[38:39]
	s_waitcnt vmcnt(1)
	v_mul_u32_u24_e32 v0, 0x50, v0
	s_waitcnt vmcnt(0)
	s_delay_alu instid0(VALU_DEP_1)
	v_or_b32_e32 v0, v0, v1
	scratch_load_b32 v1, off, off offset:8  ; 4-byte Folded Reload
	v_fma_f64 v[4:5], v[4:5], 2.0, -v[36:37]
	v_fma_f64 v[2:3], v[2:3], 2.0, -v[34:35]
	s_waitcnt vmcnt(0)
	v_add_lshl_u32 v0, v1, v0, 4
	ds_store_b128 v0, v[38:41] offset:960
	ds_store_b128 v0, v[8:11] offset:320
	;; [unrolled: 1-line block ×5, first 2 shown]
	ds_store_b128 v0, v[22:25]
	ds_store_b128 v0, v[26:29] offset:160
	ds_store_b128 v0, v[34:37] offset:1120
.LBB0_5:
	s_or_b32 exec_lo, exec_lo, s0
	v_mad_u64_u32 v[64:65], null, 0x50, v220, s[10:11]
	scratch_store_b32 off, v220, off offset:56 ; 4-byte Folded Spill
	s_waitcnt lgkmcnt(0)
	s_waitcnt_vscnt null, 0x0
	s_barrier
	buffer_gl0_inv
	s_mov_b32 s10, 0xe8584caa
	s_mov_b32 s11, 0x3febb67a
	s_clause 0x9
	global_load_b128 v[74:77], v[64:65], off offset:1120
	global_load_b128 v[70:73], v[64:65], off offset:1136
	;; [unrolled: 1-line block ×10, first 2 shown]
	ds_load_b128 v[16:19], v214 offset:1280
	ds_load_b128 v[20:23], v214 offset:2560
	;; [unrolled: 1-line block ×7, first 2 shown]
	s_mov_b32 s1, 0xbfebb67a
	s_mov_b32 s13, 0x3fee6f0e
	;; [unrolled: 1-line block ×10, first 2 shown]
	ds_load_b128 v[180:183], v214 offset:7424
	ds_load_b128 v[200:203], v214 offset:512
	;; [unrolled: 1-line block ×3, first 2 shown]
	s_waitcnt vmcnt(9) lgkmcnt(9)
	v_mul_f64 v[0:1], v[18:19], v[76:77]
	s_waitcnt vmcnt(8) lgkmcnt(8)
	v_mul_f64 v[44:45], v[22:23], v[72:73]
	;; [unrolled: 2-line block ×5, first 2 shown]
	v_mul_f64 v[50:51], v[24:25], v[68:69]
	v_mul_f64 v[46:47], v[20:21], v[72:73]
	;; [unrolled: 1-line block ×4, first 2 shown]
	s_clause 0x1
	scratch_store_b128 off, v[66:69], off offset:960
	scratch_store_b128 off, v[58:61], off offset:944
	ds_load_b128 v[60:63], v214 offset:5888
	scratch_store_b128 off, v[78:81], off offset:1008 ; 16-byte Folded Spill
	s_waitcnt vmcnt(1)
	s_clause 0x4
	scratch_store_b128 off, v[82:85], off offset:1024
	scratch_store_b128 off, v[4:7], off offset:1064
	;; [unrolled: 1-line block ×5, first 2 shown]
	v_fma_f64 v[102:103], v[16:17], v[74:75], -v[0:1]
	v_mul_f64 v[0:1], v[32:33], v[80:81]
	v_fma_f64 v[116:117], v[20:21], v[70:71], -v[44:45]
	s_waitcnt lgkmcnt(5)
	v_mul_f64 v[20:21], v[36:37], v[10:11]
	v_fma_f64 v[142:143], v[28:29], v[58:59], -v[52:53]
	v_fma_f64 v[154:155], v[32:33], v[78:79], -v[56:57]
	;; [unrolled: 1-line block ×3, first 2 shown]
	v_fma_f64 v[130:131], v[26:27], v[66:67], v[50:51]
	ds_load_b128 v[24:27], v214 offset:5376
	v_fma_f64 v[144:145], v[30:31], v[58:59], v[54:55]
	v_fma_f64 v[110:111], v[18:19], v[74:75], v[2:3]
	v_mul_f64 v[2:3], v[38:39], v[10:11]
	ds_load_b128 v[16:19], v214 offset:4096
	ds_load_b128 v[52:55], v214 offset:3328
	v_fma_f64 v[118:119], v[22:23], v[70:71], v[46:47]
	ds_load_b128 v[48:51], v214 offset:2048
	ds_load_b128 v[56:59], v214 offset:4608
	;; [unrolled: 1-line block ×4, first 2 shown]
	v_fma_f64 v[148:149], v[34:35], v[78:79], v[0:1]
	ds_load_b128 v[32:35], v214 offset:3072
	s_waitcnt lgkmcnt(12)
	v_mul_f64 v[44:45], v[42:43], v[6:7]
	v_mul_f64 v[28:29], v[40:41], v[6:7]
	v_fma_f64 v[90:91], v[38:39], v[8:9], v[20:21]
	s_waitcnt lgkmcnt(6)
	v_mul_f64 v[0:1], v[18:19], v[88:89]
	v_fma_f64 v[22:23], v[36:37], v[8:9], -v[2:3]
	v_mul_f64 v[2:3], v[16:17], v[88:89]
	ds_load_b128 v[36:39], v214 offset:4352
	v_fma_f64 v[92:93], v[40:41], v[4:5], -v[44:45]
	v_fma_f64 v[94:95], v[42:43], v[4:5], v[28:29]
	ds_load_b128 v[40:43], v214 offset:5632
	v_mul_f64 v[20:21], v[26:27], v[84:85]
	v_mul_f64 v[28:29], v[24:25], v[84:85]
	v_fma_f64 v[108:109], v[16:17], v[86:87], -v[0:1]
	ds_load_b128 v[44:47], v214 offset:6912
	scratch_load_b32 v4, off, off           ; 4-byte Folded Reload
	v_fma_f64 v[104:105], v[18:19], v[86:87], v[2:3]
	ds_load_b128 v[16:19], v214 offset:6656
	s_waitcnt vmcnt(1) lgkmcnt(0)
	v_mul_f64 v[2:3], v[16:17], v[14:15]
	v_mul_f64 v[0:1], v[18:19], v[14:15]
	v_fma_f64 v[120:121], v[24:25], v[82:83], -v[20:21]
	v_fma_f64 v[122:123], v[26:27], v[82:83], v[28:29]
	s_clause 0x1
	global_load_b128 v[24:27], v[64:65], off offset:3680
	global_load_b128 v[28:31], v[64:65], off offset:3696
	v_fma_f64 v[128:129], v[18:19], v[12:13], v[2:3]
	ds_load_b128 v[18:21], v214 offset:1792
	v_fma_f64 v[132:133], v[16:17], v[12:13], -v[0:1]
	v_add_f64 v[192:193], v[92:93], v[120:121]
	s_waitcnt vmcnt(1) lgkmcnt(0)
	v_mul_f64 v[0:1], v[20:21], v[26:27]
	s_delay_alu instid0(VALU_DEP_1) | instskip(SKIP_1) | instid1(VALU_DEP_1)
	v_fma_f64 v[16:17], v[18:19], v[24:25], -v[0:1]
	v_mul_f64 v[0:1], v[18:19], v[26:27]
	v_fma_f64 v[18:19], v[20:21], v[24:25], v[0:1]
	s_waitcnt vmcnt(0)
	v_mul_f64 v[0:1], v[34:35], v[30:31]
	s_delay_alu instid0(VALU_DEP_1) | instskip(SKIP_1) | instid1(VALU_DEP_1)
	v_fma_f64 v[84:85], v[32:33], v[28:29], -v[0:1]
	v_mul_f64 v[0:1], v[32:33], v[30:31]
	v_fma_f64 v[86:87], v[34:35], v[28:29], v[0:1]
	global_load_b128 v[32:35], v[64:65], off offset:3712
	s_waitcnt vmcnt(0)
	v_mul_f64 v[0:1], v[38:39], v[34:35]
	s_delay_alu instid0(VALU_DEP_1) | instskip(SKIP_1) | instid1(VALU_DEP_1)
	v_fma_f64 v[106:107], v[36:37], v[32:33], -v[0:1]
	v_mul_f64 v[0:1], v[36:37], v[34:35]
	v_fma_f64 v[98:99], v[38:39], v[32:33], v[0:1]
	global_load_b128 v[36:39], v[64:65], off offset:3728
	;; [unrolled: 7-line block ×3, first 2 shown]
	s_waitcnt vmcnt(0)
	v_mul_f64 v[0:1], v[46:47], v[42:43]
	s_delay_alu instid0(VALU_DEP_1) | instskip(SKIP_1) | instid1(VALU_DEP_1)
	v_fma_f64 v[138:139], v[44:45], v[40:41], -v[0:1]
	v_mul_f64 v[0:1], v[44:45], v[42:43]
	v_fma_f64 v[134:135], v[46:47], v[40:41], v[0:1]
	v_add_co_u32 v0, s0, 0x500, v64
	s_delay_alu instid0(VALU_DEP_1) | instskip(SKIP_3) | instid1(VALU_DEP_1)
	v_add_co_ci_u32_e64 v1, s0, 0, v65, s0
	global_load_b128 v[44:47], v[0:1], off offset:3680
	s_waitcnt vmcnt(0)
	v_mul_f64 v[2:3], v[50:51], v[46:47]
	v_fma_f64 v[20:21], v[48:49], v[44:45], -v[2:3]
	v_mul_f64 v[2:3], v[48:49], v[46:47]
	s_delay_alu instid0(VALU_DEP_1) | instskip(SKIP_3) | instid1(VALU_DEP_1)
	v_fma_f64 v[88:89], v[50:51], v[44:45], v[2:3]
	global_load_b128 v[48:51], v[0:1], off offset:3696
	s_waitcnt vmcnt(0)
	v_mul_f64 v[2:3], v[54:55], v[50:51]
	v_fma_f64 v[96:97], v[52:53], v[48:49], -v[2:3]
	v_mul_f64 v[2:3], v[52:53], v[50:51]
	s_delay_alu instid0(VALU_DEP_1) | instskip(SKIP_3) | instid1(VALU_DEP_1)
	v_fma_f64 v[100:101], v[54:55], v[48:49], v[2:3]
	;; [unrolled: 7-line block ×4, first 2 shown]
	global_load_b128 v[60:63], v[0:1], off offset:3744
	s_waitcnt vmcnt(0)
	v_mul_f64 v[0:1], v[68:69], v[62:63]
	v_fma_f64 v[158:159], v[66:67], v[60:61], -v[0:1]
	v_mul_f64 v[0:1], v[66:67], v[62:63]
	s_delay_alu instid0(VALU_DEP_1) | instskip(SKIP_1) | instid1(VALU_DEP_1)
	v_fma_f64 v[156:157], v[68:69], v[60:61], v[0:1]
	v_add_co_u32 v0, s0, 0xa00, v64
	v_add_co_ci_u32_e64 v1, s0, 0, v65, s0
	ds_load_b128 v[68:71], v214 offset:2304
	s_mov_b32 s0, s10
	s_clause 0x2
	global_load_b128 v[64:67], v[0:1], off offset:3680
	global_load_b128 v[80:83], v[0:1], off offset:3712
	;; [unrolled: 1-line block ×3, first 2 shown]
	s_waitcnt vmcnt(2) lgkmcnt(0)
	v_mul_f64 v[2:3], v[70:71], v[66:67]
	s_delay_alu instid0(VALU_DEP_1) | instskip(SKIP_1) | instid1(VALU_DEP_1)
	v_fma_f64 v[140:141], v[68:69], v[64:65], -v[2:3]
	v_mul_f64 v[2:3], v[68:69], v[66:67]
	v_fma_f64 v[152:153], v[70:71], v[64:65], v[2:3]
	global_load_b128 v[68:71], v[0:1], off offset:3696
	s_waitcnt vmcnt(0)
	v_mul_f64 v[2:3], v[74:75], v[70:71]
	s_delay_alu instid0(VALU_DEP_1) | instskip(SKIP_1) | instid1(VALU_DEP_1)
	v_fma_f64 v[160:161], v[72:73], v[68:69], -v[2:3]
	v_mul_f64 v[2:3], v[72:73], v[70:71]
	v_fma_f64 v[162:163], v[74:75], v[68:69], v[2:3]
	ds_load_b128 v[72:75], v214 offset:4864
	s_waitcnt lgkmcnt(0)
	v_mul_f64 v[2:3], v[74:75], v[82:83]
	s_delay_alu instid0(VALU_DEP_1) | instskip(SKIP_1) | instid1(VALU_DEP_1)
	v_fma_f64 v[166:167], v[72:73], v[80:81], -v[2:3]
	v_mul_f64 v[2:3], v[72:73], v[82:83]
	v_fma_f64 v[164:165], v[74:75], v[80:81], v[2:3]
	ds_load_b128 v[72:75], v214 offset:6144
	s_waitcnt lgkmcnt(0)
	v_mul_f64 v[2:3], v[74:75], v[78:79]
	s_delay_alu instid0(VALU_DEP_1) | instskip(SKIP_1) | instid1(VALU_DEP_2)
	v_fma_f64 v[168:169], v[72:73], v[76:77], -v[2:3]
	v_mul_f64 v[2:3], v[72:73], v[78:79]
	v_add_f64 v[220:221], v[160:161], v[168:169]
	s_delay_alu instid0(VALU_DEP_2) | instskip(SKIP_4) | instid1(VALU_DEP_1)
	v_fma_f64 v[170:171], v[74:75], v[76:77], v[2:3]
	global_load_b128 v[72:75], v[0:1], off offset:3744
	v_add_f64 v[2:3], v[118:119], v[144:145]
	s_waitcnt vmcnt(0)
	v_mul_f64 v[0:1], v[182:183], v[74:75]
	v_fma_f64 v[174:175], v[180:181], v[72:73], -v[0:1]
	v_mul_f64 v[0:1], v[180:181], v[74:75]
	s_delay_alu instid0(VALU_DEP_1)
	v_fma_f64 v[172:173], v[182:183], v[72:73], v[0:1]
	v_add_f64 v[0:1], v[116:117], v[142:143]
	ds_load_b128 v[180:183], v4
	s_waitcnt lgkmcnt(0)
	v_fma_f64 v[2:3], v[2:3], -0.5, v[182:183]
	v_add_f64 v[182:183], v[182:183], v[118:119]
	v_fma_f64 v[0:1], v[0:1], -0.5, v[180:181]
	v_add_f64 v[180:181], v[180:181], v[116:117]
	s_delay_alu instid0(VALU_DEP_3) | instskip(NEXT) | instid1(VALU_DEP_2)
	v_add_f64 v[186:187], v[182:183], v[144:145]
	v_add_f64 v[184:185], v[180:181], v[142:143]
	;; [unrolled: 1-line block ×3, first 2 shown]
	s_delay_alu instid0(VALU_DEP_1) | instskip(SKIP_1) | instid1(VALU_DEP_1)
	v_add_f64 v[188:189], v[180:181], v[154:155]
	v_add_f64 v[180:181], v[110:111], v[130:131]
	;; [unrolled: 1-line block ×3, first 2 shown]
	s_delay_alu instid0(VALU_DEP_3) | instskip(SKIP_1) | instid1(VALU_DEP_3)
	v_add_f64 v[180:181], v[184:185], v[188:189]
	v_add_f64 v[184:185], v[184:185], -v[188:189]
	v_add_f64 v[182:183], v[186:187], v[190:191]
	v_add_f64 v[186:187], v[186:187], -v[190:191]
	ds_load_b128 v[188:191], v214 offset:256
	s_waitcnt lgkmcnt(0)
	v_fma_f64 v[212:213], v[192:193], -0.5, v[188:189]
	v_add_f64 v[192:193], v[94:95], v[122:123]
	v_add_f64 v[188:189], v[188:189], v[92:93]
	s_delay_alu instid0(VALU_DEP_2) | instskip(NEXT) | instid1(VALU_DEP_2)
	v_fma_f64 v[232:233], v[192:193], -0.5, v[190:191]
	v_add_f64 v[192:193], v[188:189], v[120:121]
	v_add_f64 v[188:189], v[22:23], v[108:109]
	;; [unrolled: 1-line block ×3, first 2 shown]
	v_add_f64 v[94:95], v[94:95], -v[122:123]
	s_delay_alu instid0(VALU_DEP_3) | instskip(SKIP_1) | instid1(VALU_DEP_4)
	v_add_f64 v[196:197], v[188:189], v[132:133]
	v_add_f64 v[188:189], v[90:91], v[104:105]
	;; [unrolled: 1-line block ×3, first 2 shown]
	s_delay_alu instid0(VALU_DEP_2) | instskip(NEXT) | instid1(VALU_DEP_4)
	v_add_f64 v[198:199], v[188:189], v[128:129]
	v_add_f64 v[188:189], v[192:193], v[196:197]
	v_add_f64 v[192:193], v[192:193], -v[196:197]
	v_add_f64 v[196:197], v[84:85], v[114:115]
	s_delay_alu instid0(VALU_DEP_4) | instskip(SKIP_2) | instid1(VALU_DEP_4)
	v_add_f64 v[190:191], v[194:195], v[198:199]
	v_add_f64 v[194:195], v[194:195], -v[198:199]
	v_add_f64 v[198:199], v[202:203], v[86:87]
	v_fma_f64 v[234:235], v[196:197], -0.5, v[200:201]
	v_add_f64 v[196:197], v[86:87], v[124:125]
	s_delay_alu instid0(VALU_DEP_3) | instskip(NEXT) | instid1(VALU_DEP_2)
	v_add_f64 v[198:199], v[198:199], v[124:125]
	v_fma_f64 v[236:237], v[196:197], -0.5, v[202:203]
	v_add_f64 v[196:197], v[200:201], v[84:85]
	v_add_f64 v[200:201], v[16:17], v[106:107]
	s_delay_alu instid0(VALU_DEP_2) | instskip(NEXT) | instid1(VALU_DEP_2)
	v_add_f64 v[196:197], v[196:197], v[114:115]
	v_add_f64 v[204:205], v[200:201], v[138:139]
	;; [unrolled: 1-line block ×3, first 2 shown]
	s_delay_alu instid0(VALU_DEP_1) | instskip(NEXT) | instid1(VALU_DEP_3)
	v_add_f64 v[206:207], v[200:201], v[134:135]
	v_add_f64 v[200:201], v[196:197], v[204:205]
	v_add_f64 v[204:205], v[196:197], -v[204:205]
	v_add_f64 v[196:197], v[96:97], v[146:147]
	s_delay_alu instid0(VALU_DEP_4) | instskip(SKIP_2) | instid1(VALU_DEP_4)
	v_add_f64 v[202:203], v[198:199], v[206:207]
	v_add_f64 v[206:207], v[198:199], -v[206:207]
	v_add_f64 v[198:199], v[210:211], v[100:101]
	v_fma_f64 v[238:239], v[196:197], -0.5, v[208:209]
	v_add_f64 v[196:197], v[100:101], v[150:151]
	s_delay_alu instid0(VALU_DEP_3) | instskip(NEXT) | instid1(VALU_DEP_2)
	v_add_f64 v[198:199], v[198:199], v[150:151]
	v_fma_f64 v[240:241], v[196:197], -0.5, v[210:211]
	v_add_f64 v[196:197], v[208:209], v[96:97]
	v_add_f64 v[208:209], v[20:21], v[126:127]
	s_delay_alu instid0(VALU_DEP_2) | instskip(NEXT) | instid1(VALU_DEP_2)
	v_add_f64 v[196:197], v[196:197], v[146:147]
	v_add_f64 v[216:217], v[208:209], v[158:159]
	;; [unrolled: 1-line block ×3, first 2 shown]
	s_delay_alu instid0(VALU_DEP_1) | instskip(NEXT) | instid1(VALU_DEP_3)
	v_add_f64 v[218:219], v[208:209], v[156:157]
	v_add_f64 v[208:209], v[196:197], v[216:217]
	v_add_f64 v[196:197], v[196:197], -v[216:217]
	s_delay_alu instid0(VALU_DEP_3)
	v_add_f64 v[210:211], v[198:199], v[218:219]
	v_add_f64 v[198:199], v[198:199], -v[218:219]
	ds_load_b128 v[216:219], v214 offset:1024
	s_waitcnt lgkmcnt(0)
	v_fma_f64 v[242:243], v[220:221], -0.5, v[216:217]
	v_add_f64 v[220:221], v[162:163], v[170:171]
	v_add_f64 v[216:217], v[216:217], v[160:161]
	s_delay_alu instid0(VALU_DEP_2) | instskip(NEXT) | instid1(VALU_DEP_2)
	v_fma_f64 v[244:245], v[220:221], -0.5, v[218:219]
	v_add_f64 v[220:221], v[216:217], v[168:169]
	v_add_f64 v[216:217], v[140:141], v[166:167]
	;; [unrolled: 1-line block ×3, first 2 shown]
	s_delay_alu instid0(VALU_DEP_2) | instskip(SKIP_1) | instid1(VALU_DEP_3)
	v_add_f64 v[224:225], v[216:217], v[174:175]
	v_add_f64 v[216:217], v[152:153], v[164:165]
	;; [unrolled: 1-line block ×3, first 2 shown]
	s_delay_alu instid0(VALU_DEP_2) | instskip(NEXT) | instid1(VALU_DEP_4)
	v_add_f64 v[226:227], v[216:217], v[172:173]
	v_add_f64 v[216:217], v[220:221], v[224:225]
	v_add_f64 v[220:221], v[220:221], -v[224:225]
	v_add_f64 v[224:225], v[136:137], v[154:155]
	v_add_f64 v[136:137], v[136:137], -v[154:155]
	;; [unrolled: 2-line block ×4, first 2 shown]
	v_add_f64 v[226:227], v[118:119], -v[144:145]
	v_fma_f64 v[102:103], v[224:225], -0.5, v[102:103]
	v_fma_f64 v[110:111], v[154:155], -0.5, v[110:111]
	v_add_f64 v[154:155], v[116:117], -v[142:143]
	s_delay_alu instid0(VALU_DEP_4) | instskip(NEXT) | instid1(VALU_DEP_4)
	v_fma_f64 v[148:149], v[226:227], s[10:11], v[0:1]
	v_fma_f64 v[118:119], v[130:131], s[10:11], v[102:103]
	;; [unrolled: 1-line block ×8, first 2 shown]
	v_mul_f64 v[130:131], v[102:103], -0.5
	v_mul_f64 v[142:143], v[116:117], s[10:11]
	s_delay_alu instid0(VALU_DEP_2) | instskip(SKIP_1) | instid1(VALU_DEP_3)
	v_fma_f64 v[130:131], v[110:111], s[10:11], v[130:131]
	v_mul_f64 v[110:111], v[110:111], -0.5
	v_fma_f64 v[142:143], v[118:119], 0.5, v[142:143]
	v_mul_f64 v[118:119], v[118:119], s[0:1]
	s_delay_alu instid0(VALU_DEP_4) | instskip(NEXT) | instid1(VALU_DEP_4)
	v_add_f64 v[228:229], v[0:1], -v[130:131]
	v_fma_f64 v[102:103], v[102:103], s[0:1], v[110:111]
	v_add_f64 v[110:111], v[92:93], -v[120:121]
	s_delay_alu instid0(VALU_DEP_4)
	v_fma_f64 v[144:145], v[116:117], 0.5, v[118:119]
	v_add_f64 v[120:121], v[104:105], -v[128:129]
	v_add_f64 v[116:117], v[148:149], v[142:143]
	v_add_f64 v[142:143], v[148:149], -v[142:143]
	v_add_f64 v[148:149], v[164:165], -v[172:173]
	v_add_f64 v[226:227], v[2:3], v[102:103]
	v_add_f64 v[230:231], v[2:3], -v[102:103]
	v_add_f64 v[102:103], v[104:105], v[128:129]
	v_add_f64 v[118:119], v[224:225], v[144:145]
	v_add_f64 v[144:145], v[224:225], -v[144:145]
	v_add_f64 v[224:225], v[0:1], v[130:131]
	v_add_f64 v[0:1], v[108:109], v[132:133]
	v_add_f64 v[2:3], v[108:109], -v[132:133]
	v_fma_f64 v[104:105], v[94:95], s[10:11], v[212:213]
	v_fma_f64 v[122:123], v[110:111], s[0:1], v[232:233]
	v_fma_f64 v[108:109], v[102:103], -0.5, v[90:91]
	v_fma_f64 v[0:1], v[0:1], -0.5, v[22:23]
	s_delay_alu instid0(VALU_DEP_2) | instskip(SKIP_1) | instid1(VALU_DEP_3)
	v_fma_f64 v[22:23], v[2:3], s[0:1], v[108:109]
	v_fma_f64 v[2:3], v[2:3], s[10:11], v[108:109]
	;; [unrolled: 1-line block ×4, first 2 shown]
	s_delay_alu instid0(VALU_DEP_4) | instskip(NEXT) | instid1(VALU_DEP_2)
	v_mul_f64 v[92:93], v[22:23], s[10:11]
	v_mul_f64 v[108:109], v[0:1], -0.5
	s_delay_alu instid0(VALU_DEP_2) | instskip(SKIP_1) | instid1(VALU_DEP_3)
	v_fma_f64 v[102:103], v[90:91], 0.5, v[92:93]
	v_mul_f64 v[90:91], v[90:91], s[0:1]
	v_fma_f64 v[120:121], v[2:3], s[10:11], v[108:109]
	v_mul_f64 v[2:3], v[2:3], -0.5
	s_delay_alu instid0(VALU_DEP_3) | instskip(SKIP_2) | instid1(VALU_DEP_4)
	v_fma_f64 v[22:23], v[22:23], 0.5, v[90:91]
	v_add_f64 v[90:91], v[104:105], v[102:103]
	v_add_f64 v[102:103], v[104:105], -v[102:103]
	v_fma_f64 v[0:1], v[0:1], s[0:1], v[2:3]
	v_add_f64 v[2:3], v[106:107], -v[138:139]
	v_add_f64 v[92:93], v[122:123], v[22:23]
	v_add_f64 v[104:105], v[122:123], -v[22:23]
	v_fma_f64 v[22:23], v[94:95], s[0:1], v[212:213]
	v_fma_f64 v[94:95], v[110:111], s[10:11], v[232:233]
	s_delay_alu instid0(VALU_DEP_2) | instskip(NEXT) | instid1(VALU_DEP_2)
	v_add_f64 v[108:109], v[22:23], v[120:121]
	v_add_f64 v[110:111], v[94:95], v[0:1]
	v_add_f64 v[122:123], v[94:95], -v[0:1]
	v_add_f64 v[0:1], v[106:107], v[138:139]
	v_add_f64 v[120:121], v[22:23], -v[120:121]
	;; [unrolled: 2-line block ×3, first 2 shown]
	v_add_f64 v[106:107], v[86:87], -v[124:125]
	v_add_f64 v[94:95], v[84:85], -v[114:115]
	v_fma_f64 v[0:1], v[0:1], -0.5, v[16:17]
	v_fma_f64 v[22:23], v[22:23], -0.5, v[18:19]
	s_delay_alu instid0(VALU_DEP_4) | instskip(NEXT) | instid1(VALU_DEP_4)
	v_fma_f64 v[114:115], v[106:107], s[10:11], v[234:235]
	v_fma_f64 v[124:125], v[94:95], s[0:1], v[236:237]
	;; [unrolled: 1-line block ×8, first 2 shown]
	v_add_f64 v[106:107], v[112:113], -v[156:157]
	v_mul_f64 v[22:23], v[0:1], -0.5
	v_mul_f64 v[84:85], v[16:17], s[10:11]
	s_delay_alu instid0(VALU_DEP_2) | instskip(SKIP_1) | instid1(VALU_DEP_3)
	v_fma_f64 v[22:23], v[2:3], s[10:11], v[22:23]
	v_mul_f64 v[2:3], v[2:3], -0.5
	v_fma_f64 v[84:85], v[18:19], 0.5, v[84:85]
	v_mul_f64 v[18:19], v[18:19], s[0:1]
	s_delay_alu instid0(VALU_DEP_4) | instskip(NEXT) | instid1(VALU_DEP_4)
	v_add_f64 v[128:129], v[98:99], v[22:23]
	v_fma_f64 v[0:1], v[0:1], s[0:1], v[2:3]
	v_add_f64 v[132:133], v[98:99], -v[22:23]
	v_add_f64 v[22:23], v[112:113], v[156:157]
	v_add_f64 v[2:3], v[126:127], -v[158:159]
	v_add_f64 v[98:99], v[100:101], -v[150:151]
	;; [unrolled: 1-line block ×3, first 2 shown]
	v_fma_f64 v[86:87], v[16:17], 0.5, v[18:19]
	v_add_f64 v[16:17], v[114:115], v[84:85]
	v_add_f64 v[84:85], v[114:115], -v[84:85]
	v_add_f64 v[146:147], v[162:163], -v[170:171]
	v_add_f64 v[130:131], v[94:95], v[0:1]
	v_add_f64 v[134:135], v[94:95], -v[0:1]
	v_add_f64 v[0:1], v[126:127], v[158:159]
	v_fma_f64 v[88:89], v[22:23], -0.5, v[88:89]
	v_fma_f64 v[112:113], v[98:99], s[10:11], v[238:239]
	v_fma_f64 v[114:115], v[100:101], s[0:1], v[240:241]
	v_add_f64 v[18:19], v[124:125], v[86:87]
	v_add_f64 v[86:87], v[124:125], -v[86:87]
	v_fma_f64 v[0:1], v[0:1], -0.5, v[20:21]
	v_fma_f64 v[20:21], v[2:3], s[0:1], v[88:89]
	v_fma_f64 v[2:3], v[2:3], s[10:11], v[88:89]
	s_delay_alu instid0(VALU_DEP_3) | instskip(NEXT) | instid1(VALU_DEP_3)
	v_fma_f64 v[22:23], v[106:107], s[10:11], v[0:1]
	v_mul_f64 v[94:95], v[20:21], s[10:11]
	v_fma_f64 v[0:1], v[106:107], s[0:1], v[0:1]
	v_fma_f64 v[106:107], v[98:99], s[0:1], v[238:239]
	s_delay_alu instid0(VALU_DEP_3) | instskip(SKIP_1) | instid1(VALU_DEP_4)
	v_fma_f64 v[94:95], v[22:23], 0.5, v[94:95]
	v_mul_f64 v[22:23], v[22:23], s[0:1]
	v_mul_f64 v[88:89], v[0:1], -0.5
	s_delay_alu instid0(VALU_DEP_2) | instskip(NEXT) | instid1(VALU_DEP_2)
	v_fma_f64 v[96:97], v[20:21], 0.5, v[22:23]
	v_fma_f64 v[88:89], v[2:3], s[10:11], v[88:89]
	v_mul_f64 v[2:3], v[2:3], -0.5
	v_add_f64 v[20:21], v[112:113], v[94:95]
	v_add_f64 v[94:95], v[112:113], -v[94:95]
	v_add_f64 v[22:23], v[114:115], v[96:97]
	v_add_f64 v[96:97], v[114:115], -v[96:97]
	v_fma_f64 v[114:115], v[100:101], s[10:11], v[240:241]
	v_fma_f64 v[0:1], v[0:1], s[0:1], v[2:3]
	v_add_f64 v[98:99], v[106:107], v[88:89]
	v_add_f64 v[112:113], v[106:107], -v[88:89]
	v_add_f64 v[88:89], v[164:165], v[172:173]
	v_add_f64 v[2:3], v[166:167], -v[174:175]
	v_add_f64 v[106:107], v[160:161], -v[168:169]
	v_add_f64 v[100:101], v[114:115], v[0:1]
	v_add_f64 v[114:115], v[114:115], -v[0:1]
	v_add_f64 v[0:1], v[166:167], v[174:175]
	v_fma_f64 v[88:89], v[88:89], -0.5, v[152:153]
	v_fma_f64 v[150:151], v[106:107], s[0:1], v[244:245]
	s_delay_alu instid0(VALU_DEP_3) | instskip(NEXT) | instid1(VALU_DEP_3)
	v_fma_f64 v[0:1], v[0:1], -0.5, v[140:141]
	v_fma_f64 v[124:125], v[2:3], s[0:1], v[88:89]
	v_fma_f64 v[2:3], v[2:3], s[10:11], v[88:89]
	;; [unrolled: 1-line block ×6, first 2 shown]
	v_mul_f64 v[136:137], v[124:125], s[10:11]
	s_delay_alu instid0(VALU_DEP_2) | instskip(NEXT) | instid1(VALU_DEP_2)
	v_mul_f64 v[106:107], v[0:1], -0.5
	v_fma_f64 v[136:137], v[126:127], 0.5, v[136:137]
	v_mul_f64 v[126:127], v[126:127], s[0:1]
	s_delay_alu instid0(VALU_DEP_3) | instskip(SKIP_1) | instid1(VALU_DEP_3)
	v_fma_f64 v[106:107], v[2:3], s[10:11], v[106:107]
	v_mul_f64 v[2:3], v[2:3], -0.5
	v_fma_f64 v[138:139], v[124:125], 0.5, v[126:127]
	v_add_f64 v[124:125], v[140:141], v[136:137]
	v_add_f64 v[136:137], v[140:141], -v[136:137]
	v_fma_f64 v[140:141], v[146:147], s[0:1], v[242:243]
	s_mov_b32 s10, 0x134454ff
	s_mov_b32 s11, 0xbfee6f0e
	;; [unrolled: 1-line block ×3, first 2 shown]
	v_fma_f64 v[0:1], v[0:1], s[0:1], v[2:3]
	v_add_f64 v[126:127], v[150:151], v[138:139]
	v_add_f64 v[138:139], v[150:151], -v[138:139]
	s_add_u32 s0, s8, 0x1e00
	s_delay_alu instid0(VALU_DEP_4)
	v_add_f64 v[146:147], v[140:141], v[106:107]
	v_add_f64 v[150:151], v[140:141], -v[106:107]
	s_addc_u32 s1, s9, 0
	s_mov_b32 s8, 0x4755a5e
	s_mov_b32 s9, 0xbfe2cf23
	v_add_f64 v[148:149], v[88:89], v[0:1]
	v_add_f64 v[152:153], v[88:89], -v[0:1]
	ds_store_b128 v4, v[180:183]
	ds_store_b128 v214, v[184:187] offset:3840
	ds_store_b128 v214, v[192:195] offset:4096
	;; [unrolled: 1-line block ×29, first 2 shown]
	s_waitcnt lgkmcnt(0)
	s_waitcnt_vscnt null, 0x0
	s_barrier
	buffer_gl0_inv
	s_clause 0x1
	global_load_b128 v[16:19], v215, s[0:1]
	global_load_b128 v[84:87], v215, s[0:1] offset:1536
	ds_load_b128 v[20:23], v4
	global_load_b128 v[216:219], v215, s[0:1] offset:2048
	s_waitcnt vmcnt(2) lgkmcnt(0)
	v_mul_f64 v[0:1], v[22:23], v[18:19]
	v_mul_f64 v[2:3], v[20:21], v[18:19]
	s_delay_alu instid0(VALU_DEP_2) | instskip(NEXT) | instid1(VALU_DEP_2)
	v_fma_f64 v[18:19], v[20:21], v[16:17], -v[0:1]
	v_fma_f64 v[20:21], v[22:23], v[16:17], v[2:3]
	ds_store_b128 v4, v[18:21]
	global_load_b128 v[16:19], v215, s[0:1] offset:768
	ds_load_b128 v[20:23], v214 offset:768
	ds_load_b128 v[142:145], v214 offset:1024
	;; [unrolled: 1-line block ×27, first 2 shown]
	s_waitcnt vmcnt(0) lgkmcnt(26)
	v_mul_f64 v[0:1], v[22:23], v[18:19]
	v_mul_f64 v[2:3], v[20:21], v[18:19]
	s_delay_alu instid0(VALU_DEP_2) | instskip(NEXT) | instid1(VALU_DEP_2)
	v_fma_f64 v[18:19], v[20:21], v[16:17], -v[0:1]
	v_fma_f64 v[20:21], v[22:23], v[16:17], v[2:3]
	s_waitcnt lgkmcnt(24)
	v_mul_f64 v[0:1], v[90:91], v[86:87]
	v_mul_f64 v[2:3], v[88:89], v[86:87]
	s_delay_alu instid0(VALU_DEP_2) | instskip(NEXT) | instid1(VALU_DEP_2)
	v_fma_f64 v[86:87], v[88:89], v[84:85], -v[0:1]
	v_fma_f64 v[88:89], v[90:91], v[84:85], v[2:3]
	global_load_b128 v[90:93], v215, s[0:1] offset:2304
	s_waitcnt vmcnt(0) lgkmcnt(22)
	v_mul_f64 v[0:1], v[96:97], v[92:93]
	v_mul_f64 v[2:3], v[94:95], v[92:93]
	s_delay_alu instid0(VALU_DEP_2) | instskip(NEXT) | instid1(VALU_DEP_2)
	v_fma_f64 v[92:93], v[94:95], v[90:91], -v[0:1]
	v_fma_f64 v[94:95], v[96:97], v[90:91], v[2:3]
	global_load_b128 v[96:99], v215, s[0:1] offset:3072
	s_waitcnt vmcnt(0) lgkmcnt(20)
	;; [unrolled: 7-line block ×3, first 2 shown]
	v_mul_f64 v[0:1], v[108:109], v[104:105]
	v_mul_f64 v[2:3], v[106:107], v[104:105]
	s_delay_alu instid0(VALU_DEP_2)
	v_fma_f64 v[104:105], v[106:107], v[102:103], -v[0:1]
	scratch_load_b32 v0, off, off offset:552 ; 4-byte Folded Reload
	v_fma_f64 v[106:107], v[108:109], v[102:103], v[2:3]
	s_waitcnt vmcnt(0)
	global_load_b128 v[108:111], v0, s[0:1]
	s_waitcnt vmcnt(0) lgkmcnt(16)
	v_mul_f64 v[0:1], v[114:115], v[110:111]
	v_mul_f64 v[2:3], v[112:113], v[110:111]
	s_delay_alu instid0(VALU_DEP_2)
	v_fma_f64 v[110:111], v[112:113], v[108:109], -v[0:1]
	scratch_load_b32 v0, off, off offset:540 ; 4-byte Folded Reload
	v_fma_f64 v[112:113], v[114:115], v[108:109], v[2:3]
	s_waitcnt vmcnt(0)
	global_load_b128 v[114:117], v0, s[0:1]
	s_waitcnt vmcnt(0) lgkmcnt(14)
	;; [unrolled: 9-line block ×4, first 2 shown]
	v_mul_f64 v[0:1], v[132:133], v[128:129]
	v_mul_f64 v[2:3], v[130:131], v[128:129]
	s_delay_alu instid0(VALU_DEP_2) | instskip(NEXT) | instid1(VALU_DEP_2)
	v_fma_f64 v[128:129], v[130:131], v[126:127], -v[0:1]
	v_fma_f64 v[130:131], v[132:133], v[126:127], v[2:3]
	global_load_b128 v[132:135], v215, s[0:1] offset:256
	s_waitcnt vmcnt(0) lgkmcnt(8)
	v_mul_f64 v[0:1], v[138:139], v[134:135]
	v_mul_f64 v[2:3], v[136:137], v[134:135]
	s_delay_alu instid0(VALU_DEP_2) | instskip(NEXT) | instid1(VALU_DEP_2)
	v_fma_f64 v[134:135], v[136:137], v[132:133], -v[0:1]
	v_fma_f64 v[136:137], v[138:139], v[132:133], v[2:3]
	global_load_b128 v[138:141], v215, s[0:1] offset:1024
	s_waitcnt vmcnt(0)
	v_mul_f64 v[0:1], v[144:145], v[140:141]
	v_mul_f64 v[2:3], v[142:143], v[140:141]
	s_delay_alu instid0(VALU_DEP_2) | instskip(NEXT) | instid1(VALU_DEP_2)
	v_fma_f64 v[140:141], v[142:143], v[138:139], -v[0:1]
	v_fma_f64 v[142:143], v[144:145], v[138:139], v[2:3]
	global_load_b128 v[144:147], v215, s[0:1] offset:1792
	s_waitcnt vmcnt(0) lgkmcnt(6)
	v_mul_f64 v[0:1], v[150:151], v[146:147]
	v_mul_f64 v[2:3], v[148:149], v[146:147]
	s_delay_alu instid0(VALU_DEP_2) | instskip(NEXT) | instid1(VALU_DEP_2)
	v_fma_f64 v[146:147], v[148:149], v[144:145], -v[0:1]
	v_fma_f64 v[148:149], v[150:151], v[144:145], v[2:3]
	global_load_b128 v[150:153], v215, s[0:1] offset:2560
	s_waitcnt vmcnt(0)
	v_mul_f64 v[0:1], v[156:157], v[152:153]
	v_mul_f64 v[2:3], v[154:155], v[152:153]
	s_delay_alu instid0(VALU_DEP_2) | instskip(NEXT) | instid1(VALU_DEP_2)
	v_fma_f64 v[152:153], v[154:155], v[150:151], -v[0:1]
	v_fma_f64 v[154:155], v[156:157], v[150:151], v[2:3]
	global_load_b128 v[156:159], v215, s[0:1] offset:3328
	s_waitcnt vmcnt(0)
	v_mul_f64 v[0:1], v[162:163], v[158:159]
	v_mul_f64 v[2:3], v[160:161], v[158:159]
	s_delay_alu instid0(VALU_DEP_2)
	v_fma_f64 v[158:159], v[160:161], v[156:157], -v[0:1]
	scratch_load_b32 v0, off, off offset:588 ; 4-byte Folded Reload
	v_fma_f64 v[160:161], v[162:163], v[156:157], v[2:3]
	s_waitcnt vmcnt(0)
	global_load_b128 v[162:165], v0, s[0:1]
	s_waitcnt vmcnt(0)
	v_mul_f64 v[0:1], v[168:169], v[164:165]
	v_mul_f64 v[2:3], v[166:167], v[164:165]
	s_delay_alu instid0(VALU_DEP_2)
	v_fma_f64 v[164:165], v[166:167], v[162:163], -v[0:1]
	scratch_load_b32 v0, off, off offset:596 ; 4-byte Folded Reload
	v_fma_f64 v[166:167], v[168:169], v[162:163], v[2:3]
	s_waitcnt vmcnt(0)
	global_load_b128 v[168:171], v0, s[0:1]
	s_waitcnt vmcnt(0) lgkmcnt(4)
	v_mul_f64 v[0:1], v[174:175], v[170:171]
	v_mul_f64 v[2:3], v[172:173], v[170:171]
	s_delay_alu instid0(VALU_DEP_2)
	v_fma_f64 v[170:171], v[172:173], v[168:169], -v[0:1]
	scratch_load_b32 v0, off, off offset:608 ; 4-byte Folded Reload
	v_fma_f64 v[172:173], v[174:175], v[168:169], v[2:3]
	s_waitcnt vmcnt(0)
	global_load_b128 v[180:183], v0, s[0:1]
	s_waitcnt vmcnt(0)
	v_mul_f64 v[0:1], v[186:187], v[182:183]
	v_mul_f64 v[2:3], v[184:185], v[182:183]
	s_delay_alu instid0(VALU_DEP_2)
	v_fma_f64 v[182:183], v[184:185], v[180:181], -v[0:1]
	scratch_load_b32 v0, off, off offset:612 ; 4-byte Folded Reload
	v_fma_f64 v[184:185], v[186:187], v[180:181], v[2:3]
	s_waitcnt vmcnt(0)
	global_load_b128 v[186:189], v0, s[0:1]
	s_waitcnt vmcnt(0) lgkmcnt(2)
	v_mul_f64 v[0:1], v[192:193], v[188:189]
	v_mul_f64 v[2:3], v[190:191], v[188:189]
	s_delay_alu instid0(VALU_DEP_2)
	v_fma_f64 v[188:189], v[190:191], v[186:187], -v[0:1]
	scratch_load_b32 v0, off, off offset:600 ; 4-byte Folded Reload
	v_fma_f64 v[190:191], v[192:193], v[186:187], v[2:3]
	s_waitcnt vmcnt(0)
	global_load_b128 v[192:195], v0, s[0:1]
	s_waitcnt vmcnt(0)
	v_mul_f64 v[0:1], v[198:199], v[194:195]
	v_mul_f64 v[2:3], v[196:197], v[194:195]
	s_delay_alu instid0(VALU_DEP_2) | instskip(NEXT) | instid1(VALU_DEP_2)
	v_fma_f64 v[194:195], v[196:197], v[192:193], -v[0:1]
	v_fma_f64 v[196:197], v[198:199], v[192:193], v[2:3]
	global_load_b128 v[198:201], v215, s[0:1] offset:512
	s_waitcnt vmcnt(0)
	v_mul_f64 v[0:1], v[204:205], v[200:201]
	v_mul_f64 v[2:3], v[202:203], v[200:201]
	s_delay_alu instid0(VALU_DEP_2) | instskip(NEXT) | instid1(VALU_DEP_2)
	v_fma_f64 v[200:201], v[202:203], v[198:199], -v[0:1]
	v_fma_f64 v[202:203], v[204:205], v[198:199], v[2:3]
	global_load_b128 v[204:207], v215, s[0:1] offset:1280
	s_waitcnt vmcnt(0)
	v_mul_f64 v[0:1], v[210:211], v[206:207]
	v_mul_f64 v[2:3], v[208:209], v[206:207]
	s_delay_alu instid0(VALU_DEP_2) | instskip(NEXT) | instid1(VALU_DEP_2)
	v_fma_f64 v[206:207], v[208:209], v[204:205], -v[0:1]
	v_fma_f64 v[208:209], v[210:211], v[204:205], v[2:3]
	v_mul_f64 v[0:1], v[222:223], v[218:219]
	v_mul_f64 v[2:3], v[220:221], v[218:219]
	ds_load_b128 v[210:213], v214 offset:3584
	v_fma_f64 v[218:219], v[220:221], v[216:217], -v[0:1]
	v_fma_f64 v[220:221], v[222:223], v[216:217], v[2:3]
	global_load_b128 v[222:225], v215, s[0:1] offset:2816
	s_waitcnt vmcnt(0)
	v_mul_f64 v[0:1], v[228:229], v[224:225]
	v_mul_f64 v[2:3], v[226:227], v[224:225]
	s_delay_alu instid0(VALU_DEP_2) | instskip(NEXT) | instid1(VALU_DEP_2)
	v_fma_f64 v[224:225], v[226:227], v[222:223], -v[0:1]
	v_fma_f64 v[226:227], v[228:229], v[222:223], v[2:3]
	global_load_b128 v[228:231], v215, s[0:1] offset:3584
	s_waitcnt vmcnt(0) lgkmcnt(0)
	v_mul_f64 v[0:1], v[212:213], v[230:231]
	v_mul_f64 v[2:3], v[210:211], v[230:231]
	s_delay_alu instid0(VALU_DEP_2)
	v_fma_f64 v[210:211], v[210:211], v[228:229], -v[0:1]
	scratch_load_b32 v0, off, off offset:576 ; 4-byte Folded Reload
	v_fma_f64 v[212:213], v[212:213], v[228:229], v[2:3]
	s_waitcnt vmcnt(0)
	global_load_b128 v[228:231], v0, s[0:1]
	s_waitcnt vmcnt(0)
	v_mul_f64 v[0:1], v[234:235], v[230:231]
	v_mul_f64 v[2:3], v[232:233], v[230:231]
	s_delay_alu instid0(VALU_DEP_2)
	v_fma_f64 v[230:231], v[232:233], v[228:229], -v[0:1]
	scratch_load_b32 v0, off, off offset:580 ; 4-byte Folded Reload
	v_fma_f64 v[232:233], v[234:235], v[228:229], v[2:3]
	s_waitcnt vmcnt(0)
	global_load_b128 v[234:237], v0, s[0:1]
	s_waitcnt vmcnt(0)
	;; [unrolled: 9-line block ×4, first 2 shown]
	v_mul_f64 v[0:1], v[252:253], v[248:249]
	v_mul_f64 v[2:3], v[250:251], v[248:249]
	s_delay_alu instid0(VALU_DEP_2)
	v_fma_f64 v[248:249], v[250:251], v[246:247], -v[0:1]
	scratch_load_b32 v0, off, off offset:604 ; 4-byte Folded Reload
	v_fma_f64 v[250:251], v[252:253], v[246:247], v[2:3]
	s_waitcnt vmcnt(0)
	global_load_b128 v[252:255], v0, s[0:1]
	ds_load_b128 v[0:3], v214 offset:7424
	s_mov_b32 s1, 0x3fe2cf23
	s_mov_b32 s0, s8
	s_waitcnt vmcnt(0) lgkmcnt(0)
	v_mul_f64 v[16:17], v[2:3], v[254:255]
	v_mul_f64 v[22:23], v[0:1], v[254:255]
	s_delay_alu instid0(VALU_DEP_2) | instskip(NEXT) | instid1(VALU_DEP_2)
	v_fma_f64 v[0:1], v[0:1], v[252:253], -v[16:17]
	v_fma_f64 v[2:3], v[2:3], v[252:253], v[22:23]
	ds_store_b128 v214, v[18:21] offset:768
	ds_store_b128 v214, v[140:143] offset:1024
	;; [unrolled: 1-line block ×29, first 2 shown]
	s_waitcnt lgkmcnt(0)
	s_barrier
	buffer_gl0_inv
	ds_load_b128 v[88:91], v214 offset:1536
	ds_load_b128 v[84:87], v4
	ds_load_b128 v[0:3], v214 offset:6144
	ds_load_b128 v[94:97], v214 offset:3072
	;; [unrolled: 1-line block ×3, first 2 shown]
	s_waitcnt lgkmcnt(3)
	v_add_f64 v[20:21], v[84:85], v[88:89]
	v_add_f64 v[22:23], v[86:87], v[90:91]
	s_waitcnt lgkmcnt(2)
	v_add_f64 v[112:113], v[88:89], v[0:1]
	v_add_f64 v[116:117], v[90:91], v[2:3]
	v_add_f64 v[16:17], v[90:91], -v[2:3]
	s_waitcnt lgkmcnt(1)
	v_add_f64 v[128:129], v[88:89], -v[94:95]
	v_add_f64 v[92:93], v[94:95], -v[88:89]
	;; [unrolled: 1-line block ×5, first 2 shown]
	s_waitcnt lgkmcnt(0)
	v_add_f64 v[126:127], v[96:97], v[100:101]
	v_add_f64 v[124:125], v[94:95], v[98:99]
	v_add_f64 v[132:133], v[0:1], -v[98:99]
	v_add_f64 v[134:135], v[2:3], -v[100:101]
	v_add_f64 v[90:91], v[20:21], v[94:95]
	v_add_f64 v[102:103], v[22:23], v[96:97]
	v_add_f64 v[20:21], v[96:97], -v[100:101]
	v_add_f64 v[22:23], v[94:95], -v[98:99]
	;; [unrolled: 1-line block ×3, first 2 shown]
	v_fma_f64 v[112:113], v[112:113], -0.5, v[84:85]
	v_add_f64 v[90:91], v[90:91], v[98:99]
	v_add_f64 v[96:97], v[102:103], v[100:101]
	v_add_f64 v[98:99], v[100:101], -v[2:3]
	s_delay_alu instid0(VALU_DEP_3) | instskip(NEXT) | instid1(VALU_DEP_3)
	v_add_f64 v[136:137], v[90:91], v[0:1]
	v_add_f64 v[138:139], v[96:97], v[2:3]
	ds_load_b128 v[0:3], v214 offset:768
	ds_load_b128 v[100:103], v214 offset:2304
	;; [unrolled: 1-line block ×4, first 2 shown]
	v_add_f64 v[88:89], v[88:89], v[98:99]
	s_waitcnt lgkmcnt(2)
	v_add_f64 v[120:121], v[0:1], v[100:101]
	v_add_f64 v[122:123], v[2:3], v[102:103]
	s_waitcnt lgkmcnt(1)
	v_add_f64 v[140:141], v[100:101], v[104:105]
	v_add_f64 v[142:143], v[102:103], v[106:107]
	v_add_f64 v[90:91], v[102:103], -v[106:107]
	s_waitcnt lgkmcnt(0)
	v_add_f64 v[144:145], v[100:101], -v[108:109]
	v_add_f64 v[114:115], v[108:109], -v[100:101]
	;; [unrolled: 1-line block ×5, first 2 shown]
	v_add_f64 v[148:149], v[120:121], v[108:109]
	v_add_f64 v[150:151], v[122:123], v[110:111]
	ds_load_b128 v[120:123], v214 offset:5376
	s_waitcnt lgkmcnt(0)
	v_add_f64 v[152:153], v[108:109], v[120:121]
	v_add_f64 v[154:155], v[110:111], v[122:123]
	v_add_f64 v[100:101], v[110:111], -v[122:123]
	v_add_f64 v[102:103], v[108:109], -v[120:121]
	v_add_f64 v[108:109], v[148:149], v[120:121]
	v_add_f64 v[110:111], v[150:151], v[122:123]
	v_add_f64 v[150:151], v[106:107], -v[122:123]
	v_add_f64 v[122:123], v[122:123], -v[106:107]
	;; [unrolled: 1-line block ×4, first 2 shown]
	v_add_f64 v[156:157], v[108:109], v[104:105]
	v_add_f64 v[158:159], v[110:111], v[106:107]
	v_fma_f64 v[106:107], v[154:155], -0.5, v[2:3]
	v_fma_f64 v[104:105], v[124:125], -0.5, v[84:85]
	;; [unrolled: 1-line block ×7, first 2 shown]
	v_add_f64 v[142:143], v[146:147], v[150:151]
	v_add_f64 v[140:141], v[144:145], v[148:149]
	;; [unrolled: 1-line block ×5, first 2 shown]
	v_add_f64 v[124:125], v[136:137], -v[156:157]
	v_add_f64 v[136:137], v[128:129], v[132:133]
	v_fma_f64 v[128:129], v[96:97], s[12:13], v[106:107]
	v_add_f64 v[2:3], v[138:139], v[158:159]
	v_add_f64 v[126:127], v[138:139], -v[158:159]
	v_add_f64 v[138:139], v[130:131], v[134:135]
	v_fma_f64 v[130:131], v[90:91], s[10:11], v[86:87]
	v_fma_f64 v[128:129], v[102:103], s[0:1], v[128:129]
	s_delay_alu instid0(VALU_DEP_2) | instskip(NEXT) | instid1(VALU_DEP_2)
	v_fma_f64 v[130:131], v[100:101], s[8:9], v[130:131]
	v_fma_f64 v[128:129], v[142:143], s[14:15], v[128:129]
	s_delay_alu instid0(VALU_DEP_2) | instskip(NEXT) | instid1(VALU_DEP_2)
	v_fma_f64 v[130:131], v[140:141], s[14:15], v[130:131]
	v_mul_f64 v[132:133], v[128:129], s[8:9]
	s_delay_alu instid0(VALU_DEP_1) | instskip(SKIP_1) | instid1(VALU_DEP_1)
	v_fma_f64 v[132:133], v[130:131], s[16:17], v[132:133]
	v_mul_f64 v[130:131], v[130:131], s[0:1]
	v_fma_f64 v[134:135], v[128:129], s[16:17], v[130:131]
	v_fma_f64 v[128:129], v[16:17], s[10:11], v[104:105]
	;; [unrolled: 1-line block ×3, first 2 shown]
	s_delay_alu instid0(VALU_DEP_2) | instskip(NEXT) | instid1(VALU_DEP_2)
	v_fma_f64 v[128:129], v[20:21], s[8:9], v[128:129]
	v_fma_f64 v[130:131], v[22:23], s[0:1], v[130:131]
	s_delay_alu instid0(VALU_DEP_2) | instskip(NEXT) | instid1(VALU_DEP_2)
	v_fma_f64 v[144:145], v[136:137], s[14:15], v[128:129]
	v_fma_f64 v[146:147], v[138:139], s[14:15], v[130:131]
	s_delay_alu instid0(VALU_DEP_2)
	v_add_f64 v[128:129], v[144:145], v[132:133]
	v_add_f64 v[132:133], v[144:145], -v[132:133]
	v_add_f64 v[144:145], v[92:93], v[94:95]
	v_fma_f64 v[92:93], v[102:103], s[10:11], v[116:117]
	v_fma_f64 v[94:95], v[100:101], s[12:13], v[108:109]
	v_add_f64 v[130:131], v[146:147], v[134:135]
	v_add_f64 v[134:135], v[146:147], -v[134:135]
	v_fma_f64 v[108:109], v[100:101], s[10:11], v[108:109]
	v_fma_f64 v[92:93], v[96:97], s[0:1], v[92:93]
	;; [unrolled: 1-line block ×3, first 2 shown]
	s_delay_alu instid0(VALU_DEP_3) | instskip(NEXT) | instid1(VALU_DEP_3)
	v_fma_f64 v[108:109], v[90:91], s[0:1], v[108:109]
	v_fma_f64 v[92:93], v[114:115], s[14:15], v[92:93]
	s_delay_alu instid0(VALU_DEP_3) | instskip(NEXT) | instid1(VALU_DEP_3)
	v_fma_f64 v[94:95], v[98:99], s[14:15], v[94:95]
	v_fma_f64 v[98:99], v[98:99], s[14:15], v[108:109]
	s_delay_alu instid0(VALU_DEP_3) | instskip(SKIP_1) | instid1(VALU_DEP_2)
	v_mul_f64 v[118:119], v[92:93], s[10:11]
	v_mul_f64 v[92:93], v[92:93], s[14:15]
	v_fma_f64 v[118:119], v[94:95], s[14:15], v[118:119]
	s_delay_alu instid0(VALU_DEP_2) | instskip(SKIP_4) | instid1(VALU_DEP_4)
	v_fma_f64 v[120:121], v[94:95], s[12:13], v[92:93]
	v_fma_f64 v[94:95], v[22:23], s[10:11], v[110:111]
	;; [unrolled: 1-line block ×6, first 2 shown]
	s_delay_alu instid0(VALU_DEP_4) | instskip(NEXT) | instid1(VALU_DEP_4)
	v_fma_f64 v[110:111], v[18:19], s[8:9], v[110:111]
	v_fma_f64 v[92:93], v[16:17], s[8:9], v[92:93]
	s_delay_alu instid0(VALU_DEP_4)
	v_fma_f64 v[112:113], v[16:17], s[0:1], v[112:113]
	v_fma_f64 v[16:17], v[16:17], s[12:13], v[104:105]
	;; [unrolled: 1-line block ×12, first 2 shown]
	v_add_f64 v[94:95], v[146:147], v[120:121]
	v_add_f64 v[120:121], v[146:147], -v[120:121]
	v_fma_f64 v[110:111], v[96:97], s[8:9], v[110:111]
	v_fma_f64 v[84:85], v[136:137], s[14:15], v[16:17]
	;; [unrolled: 1-line block ×3, first 2 shown]
	v_add_f64 v[92:93], v[122:123], v[118:119]
	v_add_f64 v[118:119], v[122:123], -v[118:119]
	v_fma_f64 v[110:111], v[114:115], s[14:15], v[110:111]
	s_delay_alu instid0(VALU_DEP_1) | instskip(SKIP_1) | instid1(VALU_DEP_2)
	v_mul_f64 v[108:109], v[110:111], s[10:11]
	v_mul_f64 v[110:111], v[110:111], s[18:19]
	v_fma_f64 v[114:115], v[98:99], s[18:19], v[108:109]
	s_delay_alu instid0(VALU_DEP_2) | instskip(NEXT) | instid1(VALU_DEP_2)
	v_fma_f64 v[98:99], v[98:99], s[12:13], v[110:111]
	v_add_f64 v[108:109], v[112:113], v[114:115]
	s_delay_alu instid0(VALU_DEP_2) | instskip(SKIP_3) | instid1(VALU_DEP_1)
	v_add_f64 v[110:111], v[88:89], v[98:99]
	v_add_f64 v[112:113], v[112:113], -v[114:115]
	v_add_f64 v[114:115], v[88:89], -v[98:99]
	v_fma_f64 v[88:89], v[96:97], s[10:11], v[106:107]
	v_fma_f64 v[86:87], v[102:103], s[8:9], v[88:89]
	s_delay_alu instid0(VALU_DEP_1) | instskip(SKIP_1) | instid1(VALU_DEP_2)
	v_fma_f64 v[22:23], v[142:143], s[14:15], v[86:87]
	v_fma_f64 v[86:87], v[138:139], s[14:15], v[18:19]
	v_mul_f64 v[18:19], v[22:23], s[8:9]
	v_mul_f64 v[20:21], v[22:23], s[20:21]
	s_delay_alu instid0(VALU_DEP_2) | instskip(NEXT) | instid1(VALU_DEP_2)
	v_fma_f64 v[22:23], v[16:17], s[20:21], v[18:19]
	v_fma_f64 v[88:89], v[16:17], s[0:1], v[20:21]
	s_delay_alu instid0(VALU_DEP_2) | instskip(NEXT) | instid1(VALU_DEP_2)
	v_add_f64 v[16:17], v[84:85], v[22:23]
	v_add_f64 v[18:19], v[86:87], v[88:89]
	v_add_f64 v[20:21], v[84:85], -v[22:23]
	v_add_f64 v[22:23], v[86:87], -v[88:89]
	ds_load_b128 v[84:87], v214 offset:256
	ds_load_b128 v[88:91], v214 offset:1792
	;; [unrolled: 1-line block ×20, first 2 shown]
	s_waitcnt lgkmcnt(0)
	s_barrier
	buffer_gl0_inv
	ds_store_b128 v176, v[0:3]
	ds_store_b128 v176, v[124:127] offset:80
	ds_store_b128 v176, v[128:131] offset:16
	;; [unrolled: 1-line block ×9, first 2 shown]
	v_add_f64 v[0:1], v[84:85], v[88:89]
	v_add_f64 v[2:3], v[86:87], v[90:91]
	;; [unrolled: 1-line block ×3, first 2 shown]
	v_add_f64 v[112:113], v[90:91], -v[146:147]
	v_add_f64 v[108:109], v[146:147], -v[142:143]
	;; [unrolled: 1-line block ×3, first 2 shown]
	v_add_f64 v[16:17], v[88:89], v[144:145]
	v_add_f64 v[20:21], v[88:89], -v[104:105]
	v_add_f64 v[92:93], v[104:105], -v[88:89]
	v_add_f64 v[114:115], v[88:89], -v[144:145]
	v_add_f64 v[22:23], v[90:91], -v[106:107]
	v_add_f64 v[88:89], v[106:107], -v[90:91]
	v_add_f64 v[90:91], v[104:105], v[140:141]
	v_add_f64 v[94:95], v[106:107], v[142:143]
	v_add_f64 v[116:117], v[106:107], -v[142:143]
	v_add_f64 v[118:119], v[104:105], -v[140:141]
	v_add_f64 v[124:125], v[188:189], v[184:185]
	v_add_f64 v[130:131], v[188:189], -v[148:149]
	v_add_f64 v[132:133], v[148:149], -v[188:189]
	;; [unrolled: 1-line block ×4, first 2 shown]
	v_add_f64 v[126:127], v[190:191], v[186:187]
	v_add_f64 v[128:129], v[190:191], -v[186:187]
	v_add_f64 v[0:1], v[0:1], v[104:105]
	v_add_f64 v[2:3], v[2:3], v[106:107]
	v_add_f64 v[104:105], v[144:145], -v[140:141]
	v_add_f64 v[106:107], v[140:141], -v[144:145]
	v_fma_f64 v[204:205], v[18:19], -0.5, v[86:87]
	v_fma_f64 v[200:201], v[16:17], -0.5, v[84:85]
	;; [unrolled: 1-line block ×4, first 2 shown]
	v_add_f64 v[130:131], v[130:131], v[176:177]
	v_fma_f64 v[126:127], v[126:127], -0.5, v[174:175]
	v_add_f64 v[0:1], v[0:1], v[140:141]
	v_add_f64 v[2:3], v[2:3], v[142:143]
	v_add_f64 v[140:141], v[190:191], -v[150:151]
	v_add_f64 v[142:143], v[150:151], -v[190:191]
	s_delay_alu instid0(VALU_DEP_4)
	v_add_f64 v[120:121], v[0:1], v[144:145]
	v_add_f64 v[0:1], v[172:173], v[188:189]
	;; [unrolled: 1-line block ×6, first 2 shown]
	v_add_f64 v[188:189], v[186:187], -v[166:167]
	v_fma_f64 v[190:191], v[90:91], -0.5, v[84:85]
	v_add_f64 v[0:1], v[0:1], v[148:149]
	v_add_f64 v[148:149], v[148:149], -v[164:165]
	v_add_f64 v[2:3], v[2:3], v[150:151]
	v_fma_f64 v[146:147], v[146:147], -0.5, v[174:175]
	v_add_f64 v[150:151], v[150:151], -v[166:167]
	v_fma_f64 v[144:145], v[144:145], -0.5, v[172:173]
	v_add_f64 v[140:141], v[140:141], v[188:189]
	v_add_f64 v[0:1], v[0:1], v[164:165]
	v_add_f64 v[164:165], v[164:165], -v[184:185]
	v_add_f64 v[2:3], v[2:3], v[166:167]
	v_add_f64 v[166:167], v[166:167], -v[186:187]
	s_delay_alu instid0(VALU_DEP_4) | instskip(NEXT) | instid1(VALU_DEP_3)
	v_add_f64 v[184:185], v[0:1], v[184:185]
	v_add_f64 v[186:187], v[2:3], v[186:187]
	s_delay_alu instid0(VALU_DEP_2)
	v_add_f64 v[0:1], v[120:121], v[184:185]
	v_add_f64 v[16:17], v[120:121], -v[184:185]
	v_add_f64 v[120:121], v[20:21], v[104:105]
	v_fma_f64 v[20:21], v[134:135], s[12:13], v[146:147]
	v_add_f64 v[2:3], v[122:123], v[186:187]
	v_add_f64 v[18:19], v[122:123], -v[186:187]
	v_add_f64 v[122:123], v[22:23], v[108:109]
	v_fma_f64 v[22:23], v[128:129], s[10:11], v[144:145]
	v_add_f64 v[104:105], v[92:93], v[106:107]
	v_add_f64 v[106:107], v[88:89], v[110:111]
	v_fma_f64 v[88:89], v[148:149], s[10:11], v[126:127]
	v_add_f64 v[110:111], v[142:143], v[166:167]
	v_add_f64 v[108:109], v[132:133], v[164:165]
	v_fma_f64 v[20:21], v[148:149], s[0:1], v[20:21]
	v_fma_f64 v[22:23], v[150:151], s[8:9], v[22:23]
	;; [unrolled: 1-line block ×3, first 2 shown]
	s_delay_alu instid0(VALU_DEP_3) | instskip(NEXT) | instid1(VALU_DEP_3)
	v_fma_f64 v[20:21], v[140:141], s[14:15], v[20:21]
	v_fma_f64 v[22:23], v[130:131], s[14:15], v[22:23]
	s_delay_alu instid0(VALU_DEP_3) | instskip(NEXT) | instid1(VALU_DEP_3)
	v_fma_f64 v[88:89], v[110:111], s[14:15], v[88:89]
	v_mul_f64 v[84:85], v[20:21], s[8:9]
	s_delay_alu instid0(VALU_DEP_2) | instskip(SKIP_1) | instid1(VALU_DEP_3)
	v_mul_f64 v[92:93], v[88:89], s[10:11]
	v_mul_f64 v[88:89], v[88:89], s[14:15]
	v_fma_f64 v[84:85], v[22:23], s[16:17], v[84:85]
	v_mul_f64 v[22:23], v[22:23], s[0:1]
	s_delay_alu instid0(VALU_DEP_1) | instskip(SKIP_2) | instid1(VALU_DEP_2)
	v_fma_f64 v[86:87], v[20:21], s[16:17], v[22:23]
	v_fma_f64 v[20:21], v[112:113], s[10:11], v[190:191]
	;; [unrolled: 1-line block ×4, first 2 shown]
	s_delay_alu instid0(VALU_DEP_2) | instskip(NEXT) | instid1(VALU_DEP_2)
	v_fma_f64 v[22:23], v[118:119], s[0:1], v[22:23]
	v_fma_f64 v[90:91], v[120:121], s[14:15], v[20:21]
	s_delay_alu instid0(VALU_DEP_2) | instskip(NEXT) | instid1(VALU_DEP_2)
	v_fma_f64 v[94:95], v[122:123], s[14:15], v[22:23]
	v_add_f64 v[20:21], v[90:91], v[84:85]
	v_add_f64 v[84:85], v[90:91], -v[84:85]
	v_fma_f64 v[90:91], v[150:151], s[12:13], v[124:125]
	s_delay_alu instid0(VALU_DEP_4) | instskip(SKIP_1) | instid1(VALU_DEP_3)
	v_add_f64 v[22:23], v[94:95], v[86:87]
	v_add_f64 v[86:87], v[94:95], -v[86:87]
	v_fma_f64 v[90:91], v[128:129], s[8:9], v[90:91]
	s_delay_alu instid0(VALU_DEP_1) | instskip(NEXT) | instid1(VALU_DEP_1)
	v_fma_f64 v[90:91], v[108:109], s[14:15], v[90:91]
	v_fma_f64 v[94:95], v[90:91], s[12:13], v[88:89]
	;; [unrolled: 1-line block ×5, first 2 shown]
	s_delay_alu instid0(VALU_DEP_3) | instskip(NEXT) | instid1(VALU_DEP_2)
	v_fma_f64 v[88:89], v[112:113], s[8:9], v[88:89]
	v_fma_f64 v[90:91], v[114:115], s[0:1], v[90:91]
	s_delay_alu instid0(VALU_DEP_2) | instskip(NEXT) | instid1(VALU_DEP_2)
	v_fma_f64 v[132:133], v[104:105], s[14:15], v[88:89]
	v_fma_f64 v[142:143], v[106:107], s[14:15], v[90:91]
	s_delay_alu instid0(VALU_DEP_2) | instskip(SKIP_2) | instid1(VALU_DEP_4)
	v_add_f64 v[88:89], v[132:133], v[92:93]
	v_add_f64 v[92:93], v[132:133], -v[92:93]
	v_fma_f64 v[132:133], v[116:117], s[10:11], v[200:201]
	v_add_f64 v[90:91], v[142:143], v[94:95]
	v_add_f64 v[94:95], v[142:143], -v[94:95]
	v_add_f64 v[142:143], v[194:195], v[198:199]
	s_delay_alu instid0(VALU_DEP_4) | instskip(SKIP_1) | instid1(VALU_DEP_3)
	v_fma_f64 v[132:133], v[112:113], s[0:1], v[132:133]
	v_fma_f64 v[112:113], v[112:113], s[12:13], v[190:191]
	v_fma_f64 v[142:143], v[142:143], -0.5, v[182:183]
	s_delay_alu instid0(VALU_DEP_3) | instskip(SKIP_4) | instid1(VALU_DEP_4)
	v_fma_f64 v[132:133], v[104:105], s[14:15], v[132:133]
	v_fma_f64 v[104:105], v[148:149], s[12:13], v[126:127]
	;; [unrolled: 1-line block ×4, first 2 shown]
	v_add_f64 v[144:145], v[194:195], -v[198:199]
	v_fma_f64 v[104:105], v[134:135], s[8:9], v[104:105]
	s_delay_alu instid0(VALU_DEP_4) | instskip(NEXT) | instid1(VALU_DEP_4)
	v_fma_f64 v[116:117], v[150:151], s[0:1], v[126:127]
	v_fma_f64 v[120:121], v[120:121], s[14:15], v[112:113]
	v_add_f64 v[126:127], v[152:153], -v[168:169]
	s_delay_alu instid0(VALU_DEP_4) | instskip(SKIP_3) | instid1(VALU_DEP_3)
	v_fma_f64 v[104:105], v[110:111], s[14:15], v[104:105]
	v_fma_f64 v[110:111], v[118:119], s[12:13], v[204:205]
	;; [unrolled: 1-line block ×3, first 2 shown]
	v_add_f64 v[130:131], v[154:155], -v[194:195]
	v_fma_f64 v[110:111], v[114:115], s[8:9], v[110:111]
	v_fma_f64 v[114:115], v[114:115], s[10:11], v[202:203]
	s_delay_alu instid0(VALU_DEP_2) | instskip(SKIP_1) | instid1(VALU_DEP_3)
	v_fma_f64 v[110:111], v[106:107], s[14:15], v[110:111]
	v_fma_f64 v[106:107], v[150:151], s[10:11], v[124:125]
	;; [unrolled: 1-line block ×3, first 2 shown]
	s_delay_alu instid0(VALU_DEP_2) | instskip(NEXT) | instid1(VALU_DEP_2)
	v_fma_f64 v[106:107], v[128:129], s[0:1], v[106:107]
	v_fma_f64 v[122:123], v[122:123], s[14:15], v[114:115]
	v_add_f64 v[128:129], v[194:195], -v[154:155]
	s_delay_alu instid0(VALU_DEP_3) | instskip(SKIP_2) | instid1(VALU_DEP_2)
	v_fma_f64 v[106:107], v[108:109], s[14:15], v[106:107]
	v_mul_f64 v[108:109], v[104:105], s[10:11]
	v_mul_f64 v[104:105], v[104:105], s[18:19]
	v_fma_f64 v[108:109], v[106:107], s[18:19], v[108:109]
	s_delay_alu instid0(VALU_DEP_2) | instskip(NEXT) | instid1(VALU_DEP_2)
	v_fma_f64 v[124:125], v[106:107], s[12:13], v[104:105]
	v_add_f64 v[104:105], v[132:133], v[108:109]
	s_delay_alu instid0(VALU_DEP_2)
	v_add_f64 v[106:107], v[110:111], v[124:125]
	v_add_f64 v[110:111], v[110:111], -v[124:125]
	v_fma_f64 v[124:125], v[134:135], s[10:11], v[146:147]
	v_add_f64 v[108:109], v[132:133], -v[108:109]
	v_add_f64 v[146:147], v[192:193], -v[196:197]
	;; [unrolled: 1-line block ×4, first 2 shown]
	v_fma_f64 v[124:125], v[148:149], s[8:9], v[124:125]
	s_delay_alu instid0(VALU_DEP_1) | instskip(SKIP_1) | instid1(VALU_DEP_2)
	v_fma_f64 v[118:119], v[140:141], s[14:15], v[124:125]
	v_add_f64 v[140:141], v[192:193], v[196:197]
	v_mul_f64 v[114:115], v[118:119], s[8:9]
	v_mul_f64 v[116:117], v[118:119], s[20:21]
	s_delay_alu instid0(VALU_DEP_3) | instskip(NEXT) | instid1(VALU_DEP_3)
	v_fma_f64 v[140:141], v[140:141], -0.5, v[180:181]
	v_fma_f64 v[118:119], v[112:113], s[20:21], v[114:115]
	s_delay_alu instid0(VALU_DEP_3) | instskip(NEXT) | instid1(VALU_DEP_2)
	v_fma_f64 v[124:125], v[112:113], s[0:1], v[116:117]
	v_add_f64 v[112:113], v[120:121], v[118:119]
	s_delay_alu instid0(VALU_DEP_2)
	v_add_f64 v[114:115], v[122:123], v[124:125]
	v_add_f64 v[116:117], v[120:121], -v[118:119]
	v_add_f64 v[118:119], v[122:123], -v[124:125]
	ds_store_b128 v179, v[0:3]
	ds_store_b128 v179, v[20:23] offset:16
	ds_store_b128 v179, v[88:91] offset:32
	;; [unrolled: 1-line block ×9, first 2 shown]
	v_add_f64 v[0:1], v[96:97], v[100:101]
	v_add_f64 v[2:3], v[98:99], v[102:103]
	;; [unrolled: 1-line block ×6, first 2 shown]
	v_add_f64 v[20:21], v[100:101], -v[136:137]
	v_add_f64 v[22:23], v[136:137], -v[100:101]
	v_add_f64 v[84:85], v[136:137], v[156:157]
	v_add_f64 v[106:107], v[136:137], -v[156:157]
	v_add_f64 v[120:121], v[154:155], -v[170:171]
	v_add_f64 v[86:87], v[138:139], v[158:159]
	v_add_f64 v[104:105], v[138:139], -v[158:159]
	v_add_f64 v[108:109], v[162:163], -v[158:159]
	v_add_f64 v[110:111], v[158:159], -v[162:163]
	v_add_f64 v[122:123], v[192:193], -v[152:153]
	v_add_f64 v[90:91], v[160:161], -v[156:157]
	v_add_f64 v[124:125], v[152:153], -v[192:193]
	v_add_f64 v[92:93], v[102:103], -v[162:163]
	v_add_f64 v[88:89], v[102:103], -v[138:139]
	v_add_f64 v[94:95], v[100:101], -v[160:161]
	v_add_f64 v[100:101], v[138:139], -v[102:103]
	v_add_f64 v[102:103], v[156:157], -v[160:161]
	v_add_f64 v[0:1], v[0:1], v[136:137]
	v_add_f64 v[2:3], v[2:3], v[138:139]
	v_fma_f64 v[118:119], v[118:119], -0.5, v[182:183]
	v_add_f64 v[136:137], v[198:199], -v[170:171]
	v_fma_f64 v[116:117], v[116:117], -0.5, v[180:181]
	v_add_f64 v[138:139], v[170:171], -v[198:199]
	v_add_f64 v[122:123], v[122:123], v[132:133]
	v_add_f64 v[100:101], v[100:101], v[110:111]
	;; [unrolled: 1-line block ×3, first 2 shown]
	v_fma_f64 v[22:23], v[120:121], s[12:13], v[140:141]
	v_add_f64 v[0:1], v[0:1], v[156:157]
	v_add_f64 v[2:3], v[2:3], v[158:159]
	v_fma_f64 v[158:159], v[18:19], -0.5, v[98:99]
	v_add_f64 v[128:129], v[128:129], v[136:137]
	v_fma_f64 v[18:19], v[144:145], s[10:11], v[116:117]
	v_fma_f64 v[156:157], v[86:87], -0.5, v[98:99]
	v_add_f64 v[110:111], v[130:131], v[138:139]
	v_fma_f64 v[116:117], v[144:145], s[12:13], v[116:117]
	v_fma_f64 v[22:23], v[144:145], s[8:9], v[22:23]
	v_add_f64 v[112:113], v[0:1], v[160:161]
	v_add_f64 v[114:115], v[2:3], v[162:163]
	;; [unrolled: 1-line block ×4, first 2 shown]
	v_fma_f64 v[18:19], v[120:121], s[8:9], v[18:19]
	s_delay_alu instid0(VALU_DEP_3) | instskip(NEXT) | instid1(VALU_DEP_3)
	v_add_f64 v[0:1], v[0:1], v[152:153]
	v_add_f64 v[2:3], v[2:3], v[154:155]
	v_fma_f64 v[154:155], v[16:17], -0.5, v[96:97]
	v_fma_f64 v[16:17], v[146:147], s[12:13], v[118:119]
	v_fma_f64 v[152:153], v[84:85], -0.5, v[96:97]
	v_fma_f64 v[18:19], v[122:123], s[14:15], v[18:19]
	v_fma_f64 v[118:119], v[146:147], s[10:11], v[118:119]
	v_add_f64 v[0:1], v[0:1], v[168:169]
	v_add_f64 v[2:3], v[2:3], v[170:171]
	v_fma_f64 v[16:17], v[126:127], s[0:1], v[16:17]
	s_delay_alu instid0(VALU_DEP_4) | instskip(NEXT) | instid1(VALU_DEP_4)
	v_fma_f64 v[118:119], v[126:127], s[8:9], v[118:119]
	v_add_f64 v[148:149], v[0:1], v[196:197]
	s_delay_alu instid0(VALU_DEP_4) | instskip(NEXT) | instid1(VALU_DEP_4)
	v_add_f64 v[150:151], v[2:3], v[198:199]
	v_fma_f64 v[16:17], v[128:129], s[14:15], v[16:17]
	s_delay_alu instid0(VALU_DEP_3) | instskip(SKIP_2) | instid1(VALU_DEP_4)
	v_add_f64 v[0:1], v[112:113], v[148:149]
	v_add_f64 v[84:85], v[112:113], -v[148:149]
	v_add_f64 v[112:113], v[20:21], v[90:91]
	v_mul_f64 v[20:21], v[16:17], s[8:9]
	v_add_f64 v[2:3], v[114:115], v[150:151]
	v_add_f64 v[86:87], v[114:115], -v[150:151]
	v_add_f64 v[114:115], v[88:89], v[108:109]
	v_add_f64 v[108:109], v[124:125], v[134:135]
	v_fma_f64 v[20:21], v[18:19], s[16:17], v[20:21]
	v_mul_f64 v[18:19], v[18:19], s[0:1]
	s_delay_alu instid0(VALU_DEP_3) | instskip(NEXT) | instid1(VALU_DEP_2)
	v_fma_f64 v[22:23], v[108:109], s[14:15], v[22:23]
	v_fma_f64 v[90:91], v[16:17], s[16:17], v[18:19]
	;; [unrolled: 1-line block ×4, first 2 shown]
	s_delay_alu instid0(VALU_DEP_2) | instskip(NEXT) | instid1(VALU_DEP_2)
	v_fma_f64 v[16:17], v[104:105], s[8:9], v[16:17]
	v_fma_f64 v[18:19], v[106:107], s[0:1], v[18:19]
	s_delay_alu instid0(VALU_DEP_2) | instskip(NEXT) | instid1(VALU_DEP_2)
	v_fma_f64 v[88:89], v[112:113], s[14:15], v[16:17]
	v_fma_f64 v[96:97], v[114:115], s[14:15], v[18:19]
	s_delay_alu instid0(VALU_DEP_2) | instskip(SKIP_2) | instid1(VALU_DEP_4)
	v_add_f64 v[16:17], v[88:89], v[20:21]
	v_add_f64 v[88:89], v[88:89], -v[20:21]
	v_fma_f64 v[20:21], v[126:127], s[10:11], v[142:143]
	v_add_f64 v[18:19], v[96:97], v[90:91]
	v_add_f64 v[90:91], v[96:97], -v[90:91]
	s_delay_alu instid0(VALU_DEP_3) | instskip(NEXT) | instid1(VALU_DEP_1)
	v_fma_f64 v[20:21], v[146:147], s[0:1], v[20:21]
	v_fma_f64 v[20:21], v[110:111], s[14:15], v[20:21]
	s_delay_alu instid0(VALU_DEP_1) | instskip(SKIP_1) | instid1(VALU_DEP_2)
	v_mul_f64 v[96:97], v[20:21], s[10:11]
	v_mul_f64 v[20:21], v[20:21], s[14:15]
	v_fma_f64 v[96:97], v[22:23], s[14:15], v[96:97]
	s_delay_alu instid0(VALU_DEP_2) | instskip(SKIP_2) | instid1(VALU_DEP_2)
	v_fma_f64 v[98:99], v[22:23], s[12:13], v[20:21]
	v_fma_f64 v[20:21], v[104:105], s[12:13], v[154:155]
	;; [unrolled: 1-line block ×4, first 2 shown]
	s_delay_alu instid0(VALU_DEP_2) | instskip(NEXT) | instid1(VALU_DEP_2)
	v_fma_f64 v[22:23], v[94:95], s[0:1], v[22:23]
	v_fma_f64 v[124:125], v[102:103], s[14:15], v[20:21]
	s_delay_alu instid0(VALU_DEP_2) | instskip(NEXT) | instid1(VALU_DEP_2)
	v_fma_f64 v[130:131], v[100:101], s[14:15], v[22:23]
	v_add_f64 v[20:21], v[124:125], v[96:97]
	v_add_f64 v[96:97], v[124:125], -v[96:97]
	v_fma_f64 v[124:125], v[126:127], s[12:13], v[142:143]
	s_delay_alu instid0(VALU_DEP_4) | instskip(SKIP_1) | instid1(VALU_DEP_3)
	v_add_f64 v[22:23], v[130:131], v[98:99]
	v_add_f64 v[98:99], v[130:131], -v[98:99]
	v_fma_f64 v[124:125], v[146:147], s[8:9], v[124:125]
	s_delay_alu instid0(VALU_DEP_1) | instskip(SKIP_1) | instid1(VALU_DEP_1)
	v_fma_f64 v[110:111], v[110:111], s[14:15], v[124:125]
	v_fma_f64 v[124:125], v[120:121], s[10:11], v[140:141]
	;; [unrolled: 1-line block ×3, first 2 shown]
	s_delay_alu instid0(VALU_DEP_1) | instskip(SKIP_1) | instid1(VALU_DEP_1)
	v_fma_f64 v[108:109], v[108:109], s[14:15], v[124:125]
	v_fma_f64 v[124:125], v[104:105], s[10:11], v[154:155]
	;; [unrolled: 1-line block ×4, first 2 shown]
	s_delay_alu instid0(VALU_DEP_2) | instskip(SKIP_1) | instid1(VALU_DEP_3)
	v_fma_f64 v[102:103], v[102:103], s[14:15], v[124:125]
	v_fma_f64 v[124:125], v[106:107], s[12:13], v[158:159]
	;; [unrolled: 1-line block ×4, first 2 shown]
	s_delay_alu instid0(VALU_DEP_3) | instskip(SKIP_1) | instid1(VALU_DEP_4)
	v_fma_f64 v[124:125], v[94:95], s[8:9], v[124:125]
	v_fma_f64 v[94:95], v[94:95], s[10:11], v[156:157]
	;; [unrolled: 1-line block ×3, first 2 shown]
	s_delay_alu instid0(VALU_DEP_4) | instskip(NEXT) | instid1(VALU_DEP_4)
	v_fma_f64 v[92:93], v[122:123], s[14:15], v[104:105]
	v_fma_f64 v[124:125], v[100:101], s[14:15], v[124:125]
	s_delay_alu instid0(VALU_DEP_4) | instskip(SKIP_3) | instid1(VALU_DEP_4)
	v_fma_f64 v[94:95], v[106:107], s[8:9], v[94:95]
	v_fma_f64 v[106:107], v[128:129], s[14:15], v[118:119]
	v_mul_f64 v[100:101], v[110:111], s[10:11]
	v_mul_f64 v[110:111], v[110:111], s[18:19]
	v_fma_f64 v[114:115], v[114:115], s[14:15], v[94:95]
	s_delay_alu instid0(VALU_DEP_4) | instskip(SKIP_3) | instid1(VALU_DEP_4)
	v_mul_f64 v[94:95], v[106:107], s[8:9]
	v_mul_f64 v[104:105], v[106:107], s[20:21]
	v_fma_f64 v[100:101], v[108:109], s[18:19], v[100:101]
	v_fma_f64 v[130:131], v[108:109], s[12:13], v[110:111]
	;; [unrolled: 1-line block ×3, first 2 shown]
	s_delay_alu instid0(VALU_DEP_4) | instskip(NEXT) | instid1(VALU_DEP_4)
	v_fma_f64 v[116:117], v[92:93], s[0:1], v[104:105]
	v_add_f64 v[108:109], v[102:103], v[100:101]
	s_delay_alu instid0(VALU_DEP_4)
	v_add_f64 v[110:111], v[124:125], v[130:131]
	v_add_f64 v[100:101], v[102:103], -v[100:101]
	v_add_f64 v[102:103], v[124:125], -v[130:131]
	v_add_f64 v[92:93], v[112:113], v[106:107]
	v_add_f64 v[94:95], v[114:115], v[116:117]
	v_add_f64 v[104:105], v[112:113], -v[106:107]
	v_add_f64 v[106:107], v[114:115], -v[116:117]
	ds_store_b128 v178, v[0:3]
	ds_store_b128 v178, v[16:19] offset:16
	ds_store_b128 v178, v[20:23] offset:32
	;; [unrolled: 1-line block ×9, first 2 shown]
	s_waitcnt lgkmcnt(0)
	s_barrier
	buffer_gl0_inv
	ds_load_b128 v[116:119], v4
	ds_load_b128 v[108:111], v214 offset:256
	ds_load_b128 v[184:187], v214 offset:1920
	;; [unrolled: 1-line block ×23, first 2 shown]
	s_and_saveexec_b32 s0, vcc_lo
	s_cbranch_execz .LBB0_7
; %bb.6:
	ds_load_b128 v[92:95], v214 offset:768
	ds_load_b128 v[84:87], v214 offset:1728
	;; [unrolled: 1-line block ×7, first 2 shown]
	s_waitcnt lgkmcnt(0)
	scratch_store_b128 off, v[0:3], off offset:32 ; 16-byte Folded Spill
	ds_load_b128 v[0:3], v214 offset:7488
	s_waitcnt lgkmcnt(0)
	scratch_store_b128 off, v[0:3], off offset:16 ; 16-byte Folded Spill
.LBB0_7:
	s_or_b32 exec_lo, exec_lo, s0
	scratch_load_b128 v[196:199], off, off offset:560 ; 16-byte Folded Reload
	s_mov_b32 s8, 0x667f3bcd
	s_mov_b32 s9, 0xbfe6a09e
	;; [unrolled: 1-line block ×4, first 2 shown]
	s_waitcnt vmcnt(0) lgkmcnt(15)
	v_mul_f64 v[0:1], v[198:199], v[194:195]
	v_mul_f64 v[2:3], v[198:199], v[192:193]
	s_delay_alu instid0(VALU_DEP_2) | instskip(NEXT) | instid1(VALU_DEP_2)
	v_fma_f64 v[0:1], v[196:197], v[192:193], v[0:1]
	v_fma_f64 v[2:3], v[196:197], v[194:195], -v[2:3]
	scratch_load_b128 v[194:197], off, off offset:664 ; 16-byte Folded Reload
	s_waitcnt vmcnt(0)
	v_mul_f64 v[192:193], v[196:197], v[186:187]
	s_delay_alu instid0(VALU_DEP_1) | instskip(SKIP_1) | instid1(VALU_DEP_1)
	v_fma_f64 v[192:193], v[194:195], v[184:185], v[192:193]
	v_mul_f64 v[184:185], v[196:197], v[184:185]
	v_fma_f64 v[184:185], v[194:195], v[186:187], -v[184:185]
	scratch_load_b128 v[194:197], off, off offset:616 ; 16-byte Folded Reload
	s_waitcnt vmcnt(0) lgkmcnt(11)
	v_mul_f64 v[186:187], v[196:197], v[190:191]
	s_delay_alu instid0(VALU_DEP_1) | instskip(SKIP_1) | instid1(VALU_DEP_1)
	v_fma_f64 v[186:187], v[194:195], v[188:189], v[186:187]
	v_mul_f64 v[188:189], v[196:197], v[188:189]
	v_fma_f64 v[188:189], v[194:195], v[190:191], -v[188:189]
	scratch_load_b128 v[194:197], off, off offset:632 ; 16-byte Folded Reload
	s_waitcnt vmcnt(0)
	v_mul_f64 v[190:191], v[196:197], v[174:175]
	s_delay_alu instid0(VALU_DEP_1) | instskip(SKIP_1) | instid1(VALU_DEP_1)
	v_fma_f64 v[190:191], v[194:195], v[172:173], v[190:191]
	v_mul_f64 v[172:173], v[196:197], v[172:173]
	v_fma_f64 v[172:173], v[194:195], v[174:175], -v[172:173]
	scratch_load_b128 v[194:197], off, off offset:648 ; 16-byte Folded Reload
	v_add_f64 v[172:173], v[118:119], -v[172:173]
	s_delay_alu instid0(VALU_DEP_1) | instskip(SKIP_2) | instid1(VALU_DEP_1)
	v_fma_f64 v[118:119], v[118:119], 2.0, -v[172:173]
	s_waitcnt vmcnt(0) lgkmcnt(7)
	v_mul_f64 v[174:175], v[196:197], v[182:183]
	v_fma_f64 v[174:175], v[194:195], v[180:181], v[174:175]
	v_mul_f64 v[180:181], v[196:197], v[180:181]
	s_delay_alu instid0(VALU_DEP_2) | instskip(NEXT) | instid1(VALU_DEP_2)
	v_add_f64 v[174:175], v[0:1], -v[174:175]
	v_fma_f64 v[180:181], v[194:195], v[182:183], -v[180:181]
	scratch_load_b128 v[194:197], off, off offset:680 ; 16-byte Folded Reload
	v_fma_f64 v[202:203], v[0:1], 2.0, -v[174:175]
	v_add_f64 v[180:181], v[2:3], -v[180:181]
	s_delay_alu instid0(VALU_DEP_1) | instskip(SKIP_2) | instid1(VALU_DEP_1)
	v_fma_f64 v[204:205], v[2:3], 2.0, -v[180:181]
	s_waitcnt vmcnt(0)
	v_mul_f64 v[182:183], v[196:197], v[170:171]
	v_fma_f64 v[182:183], v[194:195], v[168:169], v[182:183]
	v_mul_f64 v[168:169], v[196:197], v[168:169]
	s_delay_alu instid0(VALU_DEP_2) | instskip(NEXT) | instid1(VALU_DEP_2)
	v_add_f64 v[182:183], v[192:193], -v[182:183]
	v_fma_f64 v[168:169], v[194:195], v[170:171], -v[168:169]
	scratch_load_b128 v[194:197], off, off offset:696 ; 16-byte Folded Reload
	v_add_f64 v[168:169], v[184:185], -v[168:169]
	s_waitcnt vmcnt(0) lgkmcnt(3)
	v_mul_f64 v[170:171], v[196:197], v[178:179]
	s_delay_alu instid0(VALU_DEP_1) | instskip(SKIP_1) | instid1(VALU_DEP_2)
	v_fma_f64 v[170:171], v[194:195], v[176:177], v[170:171]
	v_mul_f64 v[176:177], v[196:197], v[176:177]
	v_add_f64 v[170:171], v[186:187], -v[170:171]
	s_delay_alu instid0(VALU_DEP_2) | instskip(SKIP_2) | instid1(VALU_DEP_1)
	v_fma_f64 v[176:177], v[194:195], v[178:179], -v[176:177]
	scratch_load_b128 v[194:197], off, off offset:712 ; 16-byte Folded Reload
	v_add_f64 v[176:177], v[188:189], -v[176:177]
	v_fma_f64 v[0:1], v[188:189], 2.0, -v[176:177]
	s_waitcnt vmcnt(0)
	v_mul_f64 v[178:179], v[196:197], v[166:167]
	s_delay_alu instid0(VALU_DEP_1) | instskip(SKIP_1) | instid1(VALU_DEP_1)
	v_fma_f64 v[178:179], v[194:195], v[164:165], v[178:179]
	v_mul_f64 v[164:165], v[196:197], v[164:165]
	v_fma_f64 v[164:165], v[194:195], v[166:167], -v[164:165]
	scratch_load_b128 v[194:197], off, off offset:728 ; 16-byte Folded Reload
	s_waitcnt vmcnt(0)
	v_mul_f64 v[166:167], v[196:197], v[150:151]
	s_delay_alu instid0(VALU_DEP_1) | instskip(SKIP_1) | instid1(VALU_DEP_1)
	v_fma_f64 v[166:167], v[194:195], v[148:149], v[166:167]
	v_mul_f64 v[148:149], v[196:197], v[148:149]
	v_fma_f64 v[148:149], v[194:195], v[150:151], -v[148:149]
	scratch_load_b128 v[194:197], off, off offset:744 ; 16-byte Folded Reload
	;; [unrolled: 7-line block ×3, first 2 shown]
	s_waitcnt vmcnt(0)
	v_mul_f64 v[162:163], v[196:197], v[22:23]
	s_delay_alu instid0(VALU_DEP_1) | instskip(SKIP_1) | instid1(VALU_DEP_2)
	v_fma_f64 v[162:163], v[194:195], v[20:21], v[162:163]
	v_mul_f64 v[20:21], v[196:197], v[20:21]
	v_add_f64 v[162:163], v[108:109], -v[162:163]
	s_delay_alu instid0(VALU_DEP_2) | instskip(SKIP_3) | instid1(VALU_DEP_1)
	v_fma_f64 v[20:21], v[194:195], v[22:23], -v[20:21]
	scratch_load_b128 v[194:197], off, off offset:808 ; 16-byte Folded Reload
	v_fma_f64 v[108:109], v[108:109], 2.0, -v[162:163]
	v_add_f64 v[20:21], v[110:111], -v[20:21]
	v_fma_f64 v[110:111], v[110:111], 2.0, -v[20:21]
	s_waitcnt vmcnt(0)
	v_mul_f64 v[22:23], v[196:197], v[18:19]
	s_delay_alu instid0(VALU_DEP_1) | instskip(SKIP_1) | instid1(VALU_DEP_2)
	v_fma_f64 v[22:23], v[194:195], v[16:17], v[22:23]
	v_mul_f64 v[16:17], v[196:197], v[16:17]
	v_add_f64 v[22:23], v[166:167], -v[22:23]
	s_delay_alu instid0(VALU_DEP_2) | instskip(SKIP_3) | instid1(VALU_DEP_1)
	v_fma_f64 v[16:17], v[194:195], v[18:19], -v[16:17]
	scratch_load_b128 v[194:197], off, off offset:760 ; 16-byte Folded Reload
	v_fma_f64 v[2:3], v[166:167], 2.0, -v[22:23]
	v_add_f64 v[16:17], v[148:149], -v[16:17]
	v_add_f64 v[200:201], v[162:163], v[16:17]
	v_fma_f64 v[16:17], v[148:149], 2.0, -v[16:17]
	s_waitcnt vmcnt(0)
	v_mul_f64 v[18:19], v[196:197], v[154:155]
	s_delay_alu instid0(VALU_DEP_1) | instskip(SKIP_1) | instid1(VALU_DEP_2)
	v_fma_f64 v[18:19], v[194:195], v[152:153], v[18:19]
	v_mul_f64 v[152:153], v[196:197], v[152:153]
	v_add_f64 v[18:19], v[178:179], -v[18:19]
	s_delay_alu instid0(VALU_DEP_2) | instskip(SKIP_2) | instid1(VALU_DEP_1)
	v_fma_f64 v[152:153], v[194:195], v[154:155], -v[152:153]
	scratch_load_b128 v[194:197], off, off offset:792 ; 16-byte Folded Reload
	v_add_f64 v[152:153], v[164:165], -v[152:153]
	v_fma_f64 v[148:149], v[164:165], 2.0, -v[152:153]
	s_waitcnt vmcnt(0) lgkmcnt(1)
	v_mul_f64 v[154:155], v[196:197], v[158:159]
	s_delay_alu instid0(VALU_DEP_1) | instskip(SKIP_1) | instid1(VALU_DEP_2)
	v_fma_f64 v[154:155], v[194:195], v[156:157], v[154:155]
	v_mul_f64 v[156:157], v[196:197], v[156:157]
	v_add_f64 v[154:155], v[150:151], -v[154:155]
	s_delay_alu instid0(VALU_DEP_2)
	v_fma_f64 v[156:157], v[194:195], v[158:159], -v[156:157]
	scratch_load_b128 v[194:197], off, off offset:824 ; 16-byte Folded Reload
	v_fma_f64 v[150:151], v[150:151], 2.0, -v[154:155]
	v_add_f64 v[156:157], v[160:161], -v[156:157]
	s_waitcnt vmcnt(0)
	v_mul_f64 v[158:159], v[196:197], v[146:147]
	s_delay_alu instid0(VALU_DEP_1) | instskip(SKIP_1) | instid1(VALU_DEP_1)
	v_fma_f64 v[158:159], v[194:195], v[144:145], v[158:159]
	v_mul_f64 v[144:145], v[196:197], v[144:145]
	v_fma_f64 v[144:145], v[194:195], v[146:147], -v[144:145]
	scratch_load_b128 v[194:197], off, off offset:856 ; 16-byte Folded Reload
	s_waitcnt vmcnt(0)
	v_mul_f64 v[146:147], v[196:197], v[134:135]
	s_delay_alu instid0(VALU_DEP_1) | instskip(SKIP_1) | instid1(VALU_DEP_1)
	v_fma_f64 v[146:147], v[194:195], v[132:133], v[146:147]
	v_mul_f64 v[132:133], v[196:197], v[132:133]
	v_fma_f64 v[132:133], v[194:195], v[134:135], -v[132:133]
	scratch_load_b128 v[194:197], off, off offset:888 ; 16-byte Folded Reload
	s_waitcnt vmcnt(0)
	v_mul_f64 v[134:135], v[196:197], v[138:139]
	s_delay_alu instid0(VALU_DEP_1) | instskip(SKIP_1) | instid1(VALU_DEP_2)
	v_fma_f64 v[134:135], v[194:195], v[136:137], v[134:135]
	v_mul_f64 v[136:137], v[196:197], v[136:137]
	v_add_f64 v[134:135], v[112:113], -v[134:135]
	s_delay_alu instid0(VALU_DEP_2) | instskip(SKIP_3) | instid1(VALU_DEP_1)
	v_fma_f64 v[136:137], v[194:195], v[138:139], -v[136:137]
	scratch_load_b128 v[194:197], off, off offset:920 ; 16-byte Folded Reload
	v_fma_f64 v[112:113], v[112:113], 2.0, -v[134:135]
	v_add_f64 v[136:137], v[114:115], -v[136:137]
	v_fma_f64 v[114:115], v[114:115], 2.0, -v[136:137]
	s_waitcnt vmcnt(0)
	v_mul_f64 v[138:139], v[196:197], v[142:143]
	s_delay_alu instid0(VALU_DEP_1) | instskip(SKIP_1) | instid1(VALU_DEP_2)
	v_fma_f64 v[138:139], v[194:195], v[140:141], v[138:139]
	v_mul_f64 v[140:141], v[196:197], v[140:141]
	v_add_f64 v[138:139], v[146:147], -v[138:139]
	s_delay_alu instid0(VALU_DEP_2) | instskip(SKIP_4) | instid1(VALU_DEP_2)
	v_fma_f64 v[140:141], v[194:195], v[142:143], -v[140:141]
	scratch_load_b128 v[194:197], off, off offset:872 ; 16-byte Folded Reload
	v_fma_f64 v[146:147], v[146:147], 2.0, -v[138:139]
	v_add_f64 v[140:141], v[132:133], -v[140:141]
	v_add_f64 v[206:207], v[136:137], -v[138:139]
	v_fma_f64 v[132:133], v[132:133], 2.0, -v[140:141]
	v_add_f64 v[188:189], v[134:135], v[140:141]
	s_delay_alu instid0(VALU_DEP_3) | instskip(NEXT) | instid1(VALU_DEP_3)
	v_fma_f64 v[212:213], v[136:137], 2.0, -v[206:207]
	v_add_f64 v[208:209], v[114:115], -v[132:133]
	s_delay_alu instid0(VALU_DEP_3) | instskip(NEXT) | instid1(VALU_DEP_2)
	v_fma_f64 v[210:211], v[134:135], 2.0, -v[188:189]
	v_fma_f64 v[217:218], v[114:115], 2.0, -v[208:209]
	s_waitcnt vmcnt(0)
	v_mul_f64 v[142:143], v[196:197], v[130:131]
	s_delay_alu instid0(VALU_DEP_1) | instskip(SKIP_1) | instid1(VALU_DEP_2)
	v_fma_f64 v[142:143], v[194:195], v[128:129], v[142:143]
	v_mul_f64 v[128:129], v[196:197], v[128:129]
	v_add_f64 v[142:143], v[158:159], -v[142:143]
	s_delay_alu instid0(VALU_DEP_2) | instskip(SKIP_2) | instid1(VALU_DEP_1)
	v_fma_f64 v[128:129], v[194:195], v[130:131], -v[128:129]
	scratch_load_b128 v[194:197], off, off offset:840 ; 16-byte Folded Reload
	v_add_f64 v[128:129], v[144:145], -v[128:129]
	v_fma_f64 v[144:145], v[144:145], 2.0, -v[128:129]
	s_waitcnt vmcnt(0)
	v_mul_f64 v[130:131], v[196:197], v[122:123]
	s_delay_alu instid0(VALU_DEP_1)
	v_fma_f64 v[130:131], v[194:195], v[120:121], v[130:131]
	v_mul_f64 v[120:121], v[196:197], v[120:121]
	scratch_load_b128 v[196:199], off, off offset:904 ; 16-byte Folded Reload
	s_waitcnt vmcnt(0) lgkmcnt(0)
	s_waitcnt_vscnt null, 0x0
	s_barrier
	buffer_gl0_inv
	v_fma_f64 v[120:121], v[194:195], v[122:123], -v[120:121]
	v_mul_f64 v[122:123], v[198:199], v[126:127]
	v_mul_f64 v[194:195], v[198:199], v[124:125]
	v_add_f64 v[198:199], v[180:181], -v[170:171]
	v_fma_f64 v[170:171], v[186:187], 2.0, -v[170:171]
	v_add_f64 v[186:187], v[152:153], -v[154:155]
	v_fma_f64 v[154:155], v[160:161], 2.0, -v[156:157]
	v_fma_f64 v[122:123], v[196:197], v[124:125], v[122:123]
	v_fma_f64 v[124:125], v[196:197], v[126:127], -v[194:195]
	v_add_f64 v[126:127], v[116:117], -v[190:191]
	v_add_f64 v[194:195], v[172:173], -v[182:183]
	v_add_f64 v[196:197], v[174:175], v[176:177]
	v_fma_f64 v[182:183], v[192:193], 2.0, -v[182:183]
	v_add_f64 v[192:193], v[18:19], v[156:157]
	v_fma_f64 v[156:157], v[158:159], 2.0, -v[142:143]
	v_add_f64 v[176:177], v[204:205], -v[0:1]
	v_fma_f64 v[152:153], v[152:153], 2.0, -v[186:187]
	v_add_f64 v[170:171], v[202:203], -v[170:171]
	v_add_f64 v[154:155], v[148:149], -v[154:155]
	;; [unrolled: 1-line block ×4, first 2 shown]
	v_add_f64 v[190:191], v[126:127], v[168:169]
	v_fma_f64 v[168:169], v[184:185], 2.0, -v[168:169]
	v_add_f64 v[184:185], v[20:21], -v[22:23]
	v_fma_f64 v[116:117], v[116:117], 2.0, -v[126:127]
	v_fma_f64 v[22:23], v[178:179], 2.0, -v[18:19]
	;; [unrolled: 1-line block ×5, first 2 shown]
	v_fma_f64 v[18:19], v[192:193], s[0:1], v[200:201]
	v_fma_f64 v[138:139], v[198:199], s[0:1], v[194:195]
	v_add_f64 v[178:179], v[108:109], -v[2:3]
	v_fma_f64 v[148:149], v[148:149], 2.0, -v[154:155]
	v_fma_f64 v[130:131], v[130:131], 2.0, -v[122:123]
	;; [unrolled: 1-line block ×3, first 2 shown]
	v_add_f64 v[158:159], v[142:143], v[124:125]
	v_add_f64 v[140:141], v[128:129], -v[122:123]
	v_fma_f64 v[160:161], v[126:127], 2.0, -v[190:191]
	v_fma_f64 v[122:123], v[174:175], 2.0, -v[196:197]
	v_fma_f64 v[124:125], v[180:181], 2.0, -v[198:199]
	v_fma_f64 v[126:127], v[196:197], s[0:1], v[190:191]
	v_fma_f64 v[174:175], v[20:21], 2.0, -v[184:185]
	v_fma_f64 v[20:21], v[186:187], s[0:1], v[184:185]
	v_add_f64 v[168:169], v[118:119], -v[168:169]
	v_add_f64 v[166:167], v[116:117], -v[182:183]
	;; [unrolled: 1-line block ×5, first 2 shown]
	v_fma_f64 v[16:17], v[186:187], s[0:1], v[18:19]
	v_fma_f64 v[146:147], v[204:205], 2.0, -v[176:177]
	v_fma_f64 v[2:3], v[196:197], s[8:9], v[138:139]
	v_fma_f64 v[138:139], v[202:203], 2.0, -v[170:171]
	v_fma_f64 v[196:197], v[108:109], 2.0, -v[178:179]
	v_add_f64 v[130:131], v[156:157], -v[130:131]
	v_add_f64 v[132:133], v[144:145], -v[120:121]
	v_fma_f64 v[142:143], v[142:143], 2.0, -v[158:159]
	v_fma_f64 v[136:137], v[128:129], 2.0, -v[140:141]
	v_fma_f64 v[128:129], v[162:163], s[8:9], v[172:173]
	v_fma_f64 v[120:121], v[122:123], s[8:9], v[160:161]
	;; [unrolled: 1-line block ×6, first 2 shown]
	v_fma_f64 v[192:193], v[118:119], 2.0, -v[168:169]
	v_fma_f64 v[134:135], v[152:153], s[8:9], v[174:175]
	v_fma_f64 v[186:187], v[116:117], 2.0, -v[166:167]
	v_fma_f64 v[202:203], v[22:23], 2.0, -v[150:151]
	;; [unrolled: 1-line block ×3, first 2 shown]
	v_add_f64 v[112:113], v[166:167], v[176:177]
	v_add_f64 v[114:115], v[168:169], -v[170:171]
	v_fma_f64 v[198:199], v[110:111], 2.0, -v[180:181]
	v_add_f64 v[118:119], v[180:181], -v[150:151]
	v_fma_f64 v[150:151], v[194:195], 2.0, -v[2:3]
	v_add_f64 v[116:117], v[178:179], v[154:155]
	v_fma_f64 v[156:157], v[156:157], 2.0, -v[130:131]
	v_fma_f64 v[144:145], v[144:145], 2.0, -v[132:133]
	v_fma_f64 v[219:220], v[142:143], s[8:9], v[210:211]
	v_fma_f64 v[221:222], v[136:137], s[8:9], v[212:213]
	;; [unrolled: 1-line block ×5, first 2 shown]
	v_add_f64 v[128:129], v[182:183], v[132:133]
	v_fma_f64 v[22:23], v[122:123], s[8:9], v[126:127]
	v_add_f64 v[130:131], v[208:209], -v[130:131]
	v_add_f64 v[122:123], v[192:193], -v[146:147]
	v_fma_f64 v[110:111], v[162:163], s[8:9], v[134:135]
	v_add_f64 v[120:121], v[186:187], -v[138:139]
	v_add_f64 v[124:125], v[196:197], -v[202:203]
	v_fma_f64 v[140:141], v[140:141], s[0:1], v[204:205]
	v_fma_f64 v[146:147], v[168:169], 2.0, -v[114:115]
	v_add_f64 v[126:127], v[198:199], -v[148:149]
	v_fma_f64 v[148:149], v[190:191], 2.0, -v[0:1]
	v_fma_f64 v[154:155], v[180:181], 2.0, -v[118:119]
	v_add_f64 v[132:133], v[215:216], -v[156:157]
	v_add_f64 v[134:135], v[217:218], -v[144:145]
	v_fma_f64 v[144:145], v[166:167], 2.0, -v[112:113]
	v_fma_f64 v[138:139], v[142:143], s[8:9], v[221:222]
	v_fma_f64 v[168:169], v[172:173], 2.0, -v[108:109]
	v_fma_f64 v[142:143], v[158:159], s[8:9], v[152:153]
	v_fma_f64 v[160:161], v[160:161], 2.0, -v[20:21]
	v_fma_f64 v[152:153], v[178:179], 2.0, -v[116:117]
	;; [unrolled: 1-line block ×5, first 2 shown]
	scratch_load_b32 v192, off, off offset:936 ; 4-byte Folded Reload
	v_fma_f64 v[156:157], v[186:187], 2.0, -v[120:121]
	v_fma_f64 v[164:165], v[196:197], 2.0, -v[124:125]
	v_fma_f64 v[170:171], v[174:175], 2.0, -v[110:111]
	v_fma_f64 v[174:175], v[184:185], 2.0, -v[18:19]
	v_fma_f64 v[136:137], v[136:137], s[0:1], v[219:220]
	v_fma_f64 v[166:167], v[198:199], 2.0, -v[126:127]
	v_fma_f64 v[176:177], v[182:183], 2.0, -v[128:129]
	;; [unrolled: 1-line block ×4, first 2 shown]
	s_waitcnt vmcnt(0)
	ds_store_b128 v192, v[112:115] offset:960
	ds_store_b128 v192, v[0:3] offset:1120
	;; [unrolled: 1-line block ×6, first 2 shown]
	ds_store_b128 v192, v[156:159]
	ds_store_b128 v192, v[160:163] offset:160
	scratch_load_b32 v0, off, off offset:1056 ; 4-byte Folded Reload
	v_fma_f64 v[180:181], v[215:216], 2.0, -v[132:133]
	v_fma_f64 v[182:183], v[217:218], 2.0, -v[134:135]
	;; [unrolled: 1-line block ×5, first 2 shown]
	s_waitcnt vmcnt(0)
	ds_store_b128 v0, v[164:167]
	ds_store_b128 v0, v[168:171] offset:160
	ds_store_b128 v0, v[152:155] offset:320
	;; [unrolled: 1-line block ×7, first 2 shown]
	scratch_load_b32 v0, off, off offset:1060 ; 4-byte Folded Reload
	s_waitcnt vmcnt(0)
	ds_store_b128 v0, v[180:183]
	ds_store_b128 v0, v[184:187] offset:160
	ds_store_b128 v0, v[176:179] offset:320
	;; [unrolled: 1-line block ×7, first 2 shown]
	s_and_saveexec_b32 s10, vcc_lo
	s_cbranch_execz .LBB0_9
; %bb.8:
	s_clause 0x8
	scratch_load_b128 v[136:139], off, off offset:1128
	scratch_load_b128 v[128:131], off, off offset:1096
	scratch_load_b128 v[144:147], off, off offset:1160
	scratch_load_b128 v[156:159], off, off offset:32
	scratch_load_b128 v[124:127], off, off offset:1080
	scratch_load_b128 v[132:135], off, off offset:1112
	scratch_load_b128 v[140:143], off, off offset:1144
	scratch_load_b128 v[148:151], off, off offset:1176
	scratch_load_b128 v[152:155], off, off offset:16
	s_waitcnt vmcnt(8)
	v_mul_f64 v[0:1], v[138:139], v[100:101]
	s_waitcnt vmcnt(7)
	v_mul_f64 v[2:3], v[130:131], v[90:91]
	;; [unrolled: 2-line block ×7, first 2 shown]
	v_mul_f64 v[110:111], v[126:127], v[86:87]
	v_mul_f64 v[116:117], v[142:143], v[106:107]
	;; [unrolled: 1-line block ×7, first 2 shown]
	v_fma_f64 v[0:1], v[136:137], v[102:103], -v[0:1]
	v_fma_f64 v[2:3], v[128:129], v[88:89], v[2:3]
	v_fma_f64 v[16:17], v[144:145], v[156:157], v[16:17]
	v_fma_f64 v[18:19], v[124:125], v[86:87], -v[18:19]
	v_fma_f64 v[22:23], v[132:133], v[96:97], v[22:23]
	v_fma_f64 v[20:21], v[140:141], v[106:107], -v[20:21]
	v_fma_f64 v[86:87], v[148:149], v[152:153], v[108:109]
	v_fma_f64 v[84:85], v[124:125], v[84:85], v[110:111]
	;; [unrolled: 1-line block ×4, first 2 shown]
	v_fma_f64 v[98:99], v[132:133], v[98:99], -v[120:121]
	v_fma_f64 v[102:103], v[148:149], v[154:155], -v[122:123]
	;; [unrolled: 1-line block ×4, first 2 shown]
	v_add_f64 v[0:1], v[94:95], -v[0:1]
	v_add_f64 v[16:17], v[2:3], -v[16:17]
	;; [unrolled: 1-line block ×8, first 2 shown]
	v_fma_f64 v[94:95], v[94:95], 2.0, -v[0:1]
	v_add_f64 v[104:105], v[0:1], -v[16:17]
	v_fma_f64 v[2:3], v[2:3], 2.0, -v[16:17]
	v_fma_f64 v[18:19], v[18:19], 2.0, -v[20:21]
	v_add_f64 v[106:107], v[20:21], -v[86:87]
	v_fma_f64 v[22:23], v[22:23], 2.0, -v[86:87]
	v_fma_f64 v[84:85], v[84:85], 2.0, -v[96:97]
	;; [unrolled: 1-line block ×4, first 2 shown]
	v_add_f64 v[16:17], v[102:103], v[96:97]
	v_fma_f64 v[88:89], v[88:89], 2.0, -v[90:91]
	v_add_f64 v[98:99], v[90:91], v[100:101]
	v_fma_f64 v[102:103], v[0:1], 2.0, -v[104:105]
	v_fma_f64 v[20:21], v[20:21], 2.0, -v[106:107]
	v_add_f64 v[0:1], v[84:85], -v[22:23]
	v_add_f64 v[22:23], v[18:19], -v[92:93]
	;; [unrolled: 1-line block ×3, first 2 shown]
	v_fma_f64 v[2:3], v[106:107], s[0:1], v[104:105]
	v_add_f64 v[88:89], v[94:95], -v[88:89]
	v_fma_f64 v[90:91], v[96:97], 2.0, -v[16:17]
	v_fma_f64 v[96:97], v[100:101], 2.0, -v[98:99]
	v_fma_f64 v[100:101], v[16:17], s[0:1], v[98:99]
	v_fma_f64 v[108:109], v[20:21], s[8:9], v[102:103]
	v_fma_f64 v[84:85], v[84:85], 2.0, -v[0:1]
	v_fma_f64 v[112:113], v[86:87], 2.0, -v[92:93]
	v_fma_f64 v[2:3], v[16:17], s[8:9], v[2:3]
	v_fma_f64 v[110:111], v[94:95], 2.0, -v[88:89]
	v_fma_f64 v[94:95], v[18:19], 2.0, -v[22:23]
	v_fma_f64 v[114:115], v[90:91], s[8:9], v[96:97]
	v_add_f64 v[16:17], v[92:93], v[22:23]
	v_add_f64 v[18:19], v[88:89], -v[0:1]
	v_fma_f64 v[0:1], v[106:107], s[0:1], v[100:101]
	v_fma_f64 v[22:23], v[90:91], s[8:9], v[108:109]
	v_add_f64 v[84:85], v[112:113], -v[84:85]
	v_fma_f64 v[90:91], v[104:105], 2.0, -v[2:3]
	s_clause 0x1
	scratch_load_b32 v104, off, off offset:940
	scratch_load_b32 v105, off, off offset:556
	v_add_f64 v[86:87], v[110:111], -v[94:95]
	v_fma_f64 v[20:21], v[20:21], s[0:1], v[114:115]
	v_fma_f64 v[94:95], v[88:89], 2.0, -v[18:19]
	v_fma_f64 v[92:93], v[92:93], 2.0, -v[16:17]
	;; [unrolled: 1-line block ×7, first 2 shown]
	s_waitcnt vmcnt(1)
	v_mul_u32_u24_e32 v104, 0x50, v104
	s_waitcnt vmcnt(0)
	s_delay_alu instid0(VALU_DEP_1)
	v_or_b32_e32 v104, v104, v105
	scratch_load_b32 v105, off, off offset:8 ; 4-byte Folded Reload
	s_waitcnt vmcnt(0)
	v_add_lshl_u32 v104, v105, v104, 4
	ds_store_b128 v104, v[16:19] offset:960
	ds_store_b128 v104, v[92:95] offset:320
	;; [unrolled: 1-line block ×5, first 2 shown]
	ds_store_b128 v104, v[100:103]
	ds_store_b128 v104, v[96:99] offset:160
	ds_store_b128 v104, v[0:3] offset:1120
.LBB0_9:
	s_or_b32 exec_lo, exec_lo, s10
	s_waitcnt lgkmcnt(0)
	s_barrier
	buffer_gl0_inv
	scratch_load_b128 v[18:21], off, off offset:992 ; 16-byte Folded Reload
	ds_load_b128 v[0:3], v214 offset:1280
	s_mov_b32 s8, 0xe8584caa
	s_mov_b32 s9, 0xbfebb67a
	;; [unrolled: 1-line block ×4, first 2 shown]
	s_clause 0x1
	scratch_load_b128 v[4:7], off, off offset:1064
	scratch_load_b32 v152, off, off
	s_waitcnt vmcnt(2) lgkmcnt(0)
	v_mul_f64 v[16:17], v[20:21], v[2:3]
	s_delay_alu instid0(VALU_DEP_1) | instskip(SKIP_1) | instid1(VALU_DEP_1)
	v_fma_f64 v[86:87], v[18:19], v[0:1], v[16:17]
	v_mul_f64 v[0:1], v[20:21], v[0:1]
	v_fma_f64 v[96:97], v[18:19], v[2:3], -v[0:1]
	scratch_load_b128 v[18:21], off, off offset:976 ; 16-byte Folded Reload
	ds_load_b128 v[0:3], v214 offset:2560
	s_waitcnt vmcnt(0) lgkmcnt(0)
	v_mul_f64 v[16:17], v[20:21], v[2:3]
	s_delay_alu instid0(VALU_DEP_1) | instskip(SKIP_1) | instid1(VALU_DEP_1)
	v_fma_f64 v[106:107], v[18:19], v[0:1], v[16:17]
	v_mul_f64 v[0:1], v[20:21], v[0:1]
	v_fma_f64 v[108:109], v[18:19], v[2:3], -v[0:1]
	scratch_load_b128 v[18:21], off, off offset:960 ; 16-byte Folded Reload
	ds_load_b128 v[0:3], v214 offset:3840
	;; [unrolled: 8-line block ×4, first 2 shown]
	s_waitcnt vmcnt(0) lgkmcnt(0)
	v_mul_f64 v[16:17], v[20:21], v[2:3]
	s_delay_alu instid0(VALU_DEP_1) | instskip(SKIP_1) | instid1(VALU_DEP_1)
	v_fma_f64 v[142:143], v[18:19], v[0:1], v[16:17]
	v_mul_f64 v[0:1], v[20:21], v[0:1]
	v_fma_f64 v[140:141], v[18:19], v[2:3], -v[0:1]
	ds_load_b128 v[0:3], v214 offset:1536
	s_waitcnt lgkmcnt(0)
	v_mul_f64 v[16:17], v[10:11], v[2:3]
	s_delay_alu instid0(VALU_DEP_1) | instskip(SKIP_1) | instid1(VALU_DEP_1)
	v_fma_f64 v[88:89], v[8:9], v[0:1], v[16:17]
	v_mul_f64 v[0:1], v[10:11], v[0:1]
	v_fma_f64 v[98:99], v[8:9], v[2:3], -v[0:1]
	ds_load_b128 v[0:3], v214 offset:2816
	s_waitcnt lgkmcnt(0)
	v_mul_f64 v[8:9], v[6:7], v[2:3]
	s_delay_alu instid0(VALU_DEP_1)
	v_fma_f64 v[100:101], v[4:5], v[0:1], v[8:9]
	v_mul_f64 v[0:1], v[6:7], v[0:1]
	scratch_load_b128 v[6:9], off, off offset:1040 ; 16-byte Folded Reload
	v_fma_f64 v[102:103], v[4:5], v[2:3], -v[0:1]
	ds_load_b128 v[0:3], v214 offset:4096
	s_waitcnt vmcnt(0) lgkmcnt(0)
	v_mul_f64 v[4:5], v[8:9], v[2:3]
	s_delay_alu instid0(VALU_DEP_1) | instskip(SKIP_1) | instid1(VALU_DEP_1)
	v_fma_f64 v[118:119], v[6:7], v[0:1], v[4:5]
	v_mul_f64 v[0:1], v[8:9], v[0:1]
	v_fma_f64 v[114:115], v[6:7], v[2:3], -v[0:1]
	scratch_load_b128 v[6:9], off, off offset:1024 ; 16-byte Folded Reload
	ds_load_b128 v[0:3], v214 offset:5376
	s_waitcnt vmcnt(0) lgkmcnt(0)
	v_mul_f64 v[4:5], v[8:9], v[2:3]
	s_delay_alu instid0(VALU_DEP_1) | instskip(SKIP_1) | instid1(VALU_DEP_2)
	v_fma_f64 v[120:121], v[6:7], v[0:1], v[4:5]
	v_mul_f64 v[0:1], v[8:9], v[0:1]
	v_add_f64 v[8:9], v[100:101], v[120:121]
	s_delay_alu instid0(VALU_DEP_2) | instskip(SKIP_4) | instid1(VALU_DEP_2)
	v_fma_f64 v[126:127], v[6:7], v[2:3], -v[0:1]
	ds_load_b128 v[0:3], v214 offset:6656
	v_add_f64 v[6:7], v[96:97], v[122:123]
	s_waitcnt lgkmcnt(0)
	v_mul_f64 v[4:5], v[14:15], v[2:3]
	v_add_f64 v[6:7], v[6:7], v[140:141]
	s_delay_alu instid0(VALU_DEP_2) | instskip(SKIP_1) | instid1(VALU_DEP_1)
	v_fma_f64 v[138:139], v[12:13], v[0:1], v[4:5]
	v_mul_f64 v[0:1], v[14:15], v[0:1]
	v_fma_f64 v[136:137], v[12:13], v[2:3], -v[0:1]
	ds_load_b128 v[0:3], v214 offset:1792
	s_waitcnt lgkmcnt(0)
	v_mul_f64 v[4:5], v[26:27], v[2:3]
	s_delay_alu instid0(VALU_DEP_1) | instskip(SKIP_1) | instid1(VALU_DEP_1)
	v_fma_f64 v[84:85], v[24:25], v[0:1], v[4:5]
	v_mul_f64 v[0:1], v[26:27], v[0:1]
	v_fma_f64 v[90:91], v[24:25], v[2:3], -v[0:1]
	ds_load_b128 v[0:3], v214 offset:3072
	s_waitcnt lgkmcnt(0)
	v_mul_f64 v[4:5], v[30:31], v[2:3]
	s_delay_alu instid0(VALU_DEP_1) | instskip(SKIP_1) | instid1(VALU_DEP_1)
	;; [unrolled: 7-line block ×10, first 2 shown]
	v_fma_f64 v[50:51], v[60:61], v[0:1], v[4:5]
	v_mul_f64 v[0:1], v[62:63], v[0:1]
	v_fma_f64 v[48:49], v[60:61], v[2:3], -v[0:1]
	ds_load_b128 v[0:3], v214 offset:2304
	v_add_f64 v[60:61], v[92:93], v[112:113]
	s_waitcnt lgkmcnt(0)
	v_mul_f64 v[4:5], v[66:67], v[2:3]
	s_delay_alu instid0(VALU_DEP_1) | instskip(SKIP_1) | instid1(VALU_DEP_1)
	v_fma_f64 v[16:17], v[64:65], v[0:1], v[4:5]
	v_mul_f64 v[0:1], v[66:67], v[0:1]
	v_fma_f64 v[18:19], v[64:65], v[2:3], -v[0:1]
	ds_load_b128 v[0:3], v214 offset:3584
	s_waitcnt lgkmcnt(0)
	v_mul_f64 v[4:5], v[70:71], v[2:3]
	s_delay_alu instid0(VALU_DEP_1) | instskip(SKIP_1) | instid1(VALU_DEP_1)
	v_fma_f64 v[20:21], v[68:69], v[0:1], v[4:5]
	v_mul_f64 v[0:1], v[70:71], v[0:1]
	v_fma_f64 v[22:23], v[68:69], v[2:3], -v[0:1]
	ds_load_b128 v[0:3], v214 offset:4864
	s_waitcnt lgkmcnt(0)
	v_mul_f64 v[4:5], v[82:83], v[2:3]
	s_delay_alu instid0(VALU_DEP_1) | instskip(SKIP_2) | instid1(VALU_DEP_2)
	v_fma_f64 v[26:27], v[80:81], v[0:1], v[4:5]
	v_mul_f64 v[0:1], v[82:83], v[0:1]
	v_add_f64 v[82:83], v[108:109], -v[134:135]
	v_fma_f64 v[24:25], v[80:81], v[2:3], -v[0:1]
	ds_load_b128 v[0:3], v214 offset:6144
	v_add_f64 v[80:81], v[106:107], -v[132:133]
	s_waitcnt lgkmcnt(0)
	v_mul_f64 v[4:5], v[78:79], v[2:3]
	s_delay_alu instid0(VALU_DEP_1) | instskip(SKIP_2) | instid1(VALU_DEP_2)
	v_fma_f64 v[28:29], v[76:77], v[0:1], v[4:5]
	v_mul_f64 v[0:1], v[78:79], v[0:1]
	v_add_f64 v[78:79], v[124:125], -v[142:143]
	v_fma_f64 v[32:33], v[76:77], v[2:3], -v[0:1]
	ds_load_b128 v[0:3], v214 offset:7424
	s_waitcnt lgkmcnt(0)
	v_mul_f64 v[4:5], v[74:75], v[2:3]
	s_delay_alu instid0(VALU_DEP_1) | instskip(SKIP_2) | instid1(VALU_DEP_2)
	v_fma_f64 v[54:55], v[72:73], v[0:1], v[4:5]
	v_mul_f64 v[0:1], v[74:75], v[0:1]
	v_add_f64 v[4:5], v[106:107], v[132:133]
	v_fma_f64 v[52:53], v[72:73], v[2:3], -v[0:1]
	ds_load_b128 v[0:3], v152
	s_waitcnt lgkmcnt(0)
	v_fma_f64 v[72:73], v[4:5], -0.5, v[0:1]
	v_add_f64 v[4:5], v[108:109], v[134:135]
	v_add_f64 v[0:1], v[0:1], v[106:107]
	s_delay_alu instid0(VALU_DEP_2) | instskip(SKIP_2) | instid1(VALU_DEP_4)
	v_fma_f64 v[74:75], v[4:5], -0.5, v[2:3]
	v_add_f64 v[2:3], v[2:3], v[108:109]
	v_add_f64 v[4:5], v[86:87], v[124:125]
	;; [unrolled: 1-line block ×3, first 2 shown]
	s_delay_alu instid0(VALU_DEP_4) | instskip(NEXT) | instid1(VALU_DEP_4)
	v_fma_f64 v[108:109], v[80:81], s[0:1], v[74:75]
	v_add_f64 v[2:3], v[2:3], v[134:135]
	s_delay_alu instid0(VALU_DEP_4) | instskip(SKIP_1) | instid1(VALU_DEP_3)
	v_add_f64 v[4:5], v[4:5], v[142:143]
	v_fma_f64 v[80:81], v[80:81], s[8:9], v[74:75]
	v_add_f64 v[14:15], v[2:3], v[6:7]
	s_delay_alu instid0(VALU_DEP_3)
	v_add_f64 v[12:13], v[0:1], v[4:5]
	v_add_f64 v[4:5], v[0:1], -v[4:5]
	v_add_f64 v[6:7], v[2:3], -v[6:7]
	ds_load_b128 v[0:3], v214 offset:256
	s_waitcnt lgkmcnt(0)
	v_fma_f64 v[144:145], v[8:9], -0.5, v[0:1]
	v_add_f64 v[8:9], v[102:103], v[126:127]
	v_add_f64 v[0:1], v[0:1], v[100:101]
	v_add_f64 v[100:101], v[100:101], -v[120:121]
	s_delay_alu instid0(VALU_DEP_3) | instskip(NEXT) | instid1(VALU_DEP_3)
	v_fma_f64 v[146:147], v[8:9], -0.5, v[2:3]
	v_add_f64 v[8:9], v[0:1], v[120:121]
	v_add_f64 v[0:1], v[88:89], v[118:119]
	;; [unrolled: 1-line block ×3, first 2 shown]
	v_add_f64 v[102:103], v[102:103], -v[126:127]
	s_delay_alu instid0(VALU_DEP_3) | instskip(SKIP_1) | instid1(VALU_DEP_4)
	v_add_f64 v[56:57], v[0:1], v[138:139]
	v_add_f64 v[0:1], v[98:99], v[114:115]
	;; [unrolled: 1-line block ×3, first 2 shown]
	s_delay_alu instid0(VALU_DEP_2) | instskip(NEXT) | instid1(VALU_DEP_4)
	v_add_f64 v[58:59], v[0:1], v[136:137]
	v_add_f64 v[0:1], v[8:9], v[56:57]
	v_add_f64 v[8:9], v[8:9], -v[56:57]
	s_delay_alu instid0(VALU_DEP_3)
	v_add_f64 v[2:3], v[10:11], v[58:59]
	v_add_f64 v[10:11], v[10:11], -v[58:59]
	ds_load_b128 v[56:59], v214 offset:512
	s_waitcnt lgkmcnt(0)
	v_fma_f64 v[148:149], v[60:61], -0.5, v[56:57]
	v_add_f64 v[60:61], v[94:95], v[116:117]
	v_add_f64 v[56:57], v[56:57], v[92:93]
	s_delay_alu instid0(VALU_DEP_2) | instskip(NEXT) | instid1(VALU_DEP_2)
	v_fma_f64 v[150:151], v[60:61], -0.5, v[58:59]
	v_add_f64 v[60:61], v[56:57], v[112:113]
	v_add_f64 v[56:57], v[84:85], v[110:111]
	;; [unrolled: 1-line block ×3, first 2 shown]
	v_add_f64 v[112:113], v[92:93], -v[112:113]
	v_add_f64 v[94:95], v[94:95], -v[116:117]
	s_delay_alu instid0(VALU_DEP_4) | instskip(SKIP_2) | instid1(VALU_DEP_2)
	v_add_f64 v[64:65], v[56:57], v[130:131]
	v_add_f64 v[56:57], v[90:91], v[104:105]
	;; [unrolled: 1-line block ×4, first 2 shown]
	s_delay_alu instid0(VALU_DEP_4) | instskip(SKIP_2) | instid1(VALU_DEP_4)
	v_add_f64 v[56:57], v[60:61], v[64:65]
	v_add_f64 v[60:61], v[60:61], -v[64:65]
	v_add_f64 v[64:65], v[122:123], v[140:141]
	v_add_f64 v[58:59], v[62:63], v[66:67]
	v_add_f64 v[62:63], v[62:63], -v[66:67]
	s_delay_alu instid0(VALU_DEP_3) | instskip(SKIP_2) | instid1(VALU_DEP_2)
	v_fma_f64 v[76:77], v[64:65], -0.5, v[96:97]
	v_add_f64 v[64:65], v[124:125], v[142:143]
	v_add_f64 v[96:97], v[122:123], -v[140:141]
	v_fma_f64 v[86:87], v[64:65], -0.5, v[86:87]
	s_delay_alu instid0(VALU_DEP_4) | instskip(SKIP_1) | instid1(VALU_DEP_3)
	v_fma_f64 v[64:65], v[78:79], s[0:1], v[76:77]
	v_fma_f64 v[76:77], v[78:79], s[8:9], v[76:77]
	;; [unrolled: 1-line block ×3, first 2 shown]
	s_delay_alu instid0(VALU_DEP_3)
	v_mul_f64 v[66:67], v[64:65], s[8:9]
	v_mul_f64 v[64:65], v[64:65], 0.5
	v_fma_f64 v[78:79], v[96:97], s[0:1], v[86:87]
	v_mul_f64 v[74:75], v[76:77], -0.5
	v_add_f64 v[96:97], v[118:119], -v[138:139]
	v_fma_f64 v[70:71], v[68:69], 0.5, v[66:67]
	v_fma_f64 v[106:107], v[68:69], s[0:1], v[64:65]
	v_fma_f64 v[68:69], v[82:83], s[8:9], v[72:73]
	;; [unrolled: 1-line block ×3, first 2 shown]
	v_mul_f64 v[72:73], v[76:77], s[8:9]
	s_delay_alu instid0(VALU_DEP_4) | instskip(NEXT) | instid1(VALU_DEP_4)
	v_add_f64 v[66:67], v[108:109], v[106:107]
	v_add_f64 v[64:65], v[68:69], v[70:71]
	v_add_f64 v[68:69], v[68:69], -v[70:71]
	s_delay_alu instid0(VALU_DEP_4) | instskip(SKIP_3) | instid1(VALU_DEP_4)
	v_fma_f64 v[76:77], v[78:79], -0.5, v[72:73]
	v_fma_f64 v[78:79], v[78:79], s[0:1], v[74:75]
	v_add_f64 v[70:71], v[108:109], -v[106:107]
	v_add_f64 v[106:107], v[114:115], -v[136:137]
	v_add_f64 v[72:73], v[82:83], v[76:77]
	v_add_f64 v[76:77], v[82:83], -v[76:77]
	v_add_f64 v[82:83], v[114:115], v[136:137]
	v_add_f64 v[74:75], v[80:81], v[78:79]
	v_add_f64 v[78:79], v[80:81], -v[78:79]
	v_add_f64 v[80:81], v[118:119], v[138:139]
	v_fma_f64 v[118:119], v[100:101], s[0:1], v[146:147]
	v_fma_f64 v[98:99], v[82:83], -0.5, v[98:99]
	s_delay_alu instid0(VALU_DEP_3) | instskip(NEXT) | instid1(VALU_DEP_2)
	v_fma_f64 v[108:109], v[80:81], -0.5, v[88:89]
	v_fma_f64 v[80:81], v[96:97], s[0:1], v[98:99]
	v_fma_f64 v[96:97], v[96:97], s[8:9], v[98:99]
	s_delay_alu instid0(VALU_DEP_3)
	v_fma_f64 v[86:87], v[106:107], s[8:9], v[108:109]
	v_fma_f64 v[98:99], v[106:107], s[0:1], v[108:109]
	;; [unrolled: 1-line block ×3, first 2 shown]
	v_mul_f64 v[82:83], v[80:81], s[8:9]
	v_mul_f64 v[80:81], v[80:81], 0.5
	v_mul_f64 v[100:101], v[96:97], s[8:9]
	v_mul_f64 v[96:97], v[96:97], -0.5
	s_delay_alu instid0(VALU_DEP_4) | instskip(NEXT) | instid1(VALU_DEP_4)
	v_fma_f64 v[88:89], v[86:87], 0.5, v[82:83]
	v_fma_f64 v[114:115], v[86:87], s[0:1], v[80:81]
	v_fma_f64 v[86:87], v[102:103], s[8:9], v[144:145]
	;; [unrolled: 1-line block ×3, first 2 shown]
	v_fma_f64 v[100:101], v[98:99], -0.5, v[100:101]
	v_fma_f64 v[108:109], v[98:99], s[0:1], v[96:97]
	v_add_f64 v[82:83], v[118:119], v[114:115]
	v_add_f64 v[80:81], v[86:87], v[88:89]
	v_add_f64 v[86:87], v[86:87], -v[88:89]
	v_add_f64 v[96:97], v[102:103], v[100:101]
	v_add_f64 v[98:99], v[106:107], v[108:109]
	v_add_f64 v[100:101], v[102:103], -v[100:101]
	v_add_f64 v[102:103], v[106:107], -v[108:109]
	v_add_f64 v[106:107], v[110:111], v[130:131]
	v_add_f64 v[108:109], v[110:111], -v[130:131]
	v_add_f64 v[110:111], v[104:105], v[128:129]
	v_add_f64 v[88:89], v[118:119], -v[114:115]
	v_add_f64 v[114:115], v[104:105], -v[128:129]
	v_fma_f64 v[118:119], v[112:113], s[0:1], v[150:151]
	v_fma_f64 v[84:85], v[106:107], -0.5, v[84:85]
	v_fma_f64 v[110:111], v[110:111], -0.5, v[90:91]
	s_delay_alu instid0(VALU_DEP_2) | instskip(SKIP_1) | instid1(VALU_DEP_3)
	v_fma_f64 v[104:105], v[114:115], s[8:9], v[84:85]
	v_fma_f64 v[84:85], v[114:115], s[0:1], v[84:85]
	;; [unrolled: 1-line block ×4, first 2 shown]
	s_delay_alu instid0(VALU_DEP_2) | instskip(SKIP_1) | instid1(VALU_DEP_3)
	v_mul_f64 v[92:93], v[90:91], s[8:9]
	v_mul_f64 v[90:91], v[90:91], 0.5
	v_mul_f64 v[110:111], v[108:109], s[8:9]
	v_mul_f64 v[108:109], v[108:109], -0.5
	s_delay_alu instid0(VALU_DEP_4) | instskip(NEXT) | instid1(VALU_DEP_4)
	v_fma_f64 v[106:107], v[104:105], 0.5, v[92:93]
	v_fma_f64 v[116:117], v[104:105], s[0:1], v[90:91]
	v_fma_f64 v[104:105], v[94:95], s[8:9], v[148:149]
	;; [unrolled: 1-line block ×3, first 2 shown]
	s_delay_alu instid0(VALU_DEP_3) | instskip(NEXT) | instid1(VALU_DEP_3)
	v_add_f64 v[92:93], v[118:119], v[116:117]
	v_add_f64 v[90:91], v[104:105], v[106:107]
	v_add_f64 v[104:105], v[104:105], -v[106:107]
	v_add_f64 v[106:107], v[118:119], -v[116:117]
	v_fma_f64 v[116:117], v[112:113], s[8:9], v[150:151]
	v_fma_f64 v[112:113], v[84:85], -0.5, v[110:111]
	v_fma_f64 v[84:85], v[84:85], s[0:1], v[108:109]
	s_delay_alu instid0(VALU_DEP_2) | instskip(NEXT) | instid1(VALU_DEP_2)
	v_add_f64 v[108:109], v[94:95], v[112:113]
	v_add_f64 v[110:111], v[116:117], v[84:85]
	v_add_f64 v[114:115], v[116:117], -v[84:85]
	v_add_f64 v[84:85], v[36:37], v[44:45]
	ds_load_b128 v[116:119], v214 offset:768
	v_add_f64 v[112:113], v[94:95], -v[112:113]
	v_add_f64 v[94:95], v[38:39], v[46:47]
	s_waitcnt lgkmcnt(0)
	v_fma_f64 v[84:85], v[84:85], -0.5, v[116:117]
	v_add_f64 v[116:117], v[116:117], v[36:37]
	s_delay_alu instid0(VALU_DEP_3) | instskip(SKIP_1) | instid1(VALU_DEP_3)
	v_fma_f64 v[94:95], v[94:95], -0.5, v[118:119]
	v_add_f64 v[118:119], v[118:119], v[38:39]
	v_add_f64 v[120:121], v[116:117], v[44:45]
	;; [unrolled: 1-line block ×3, first 2 shown]
	v_add_f64 v[44:45], v[36:37], -v[44:45]
	s_delay_alu instid0(VALU_DEP_4) | instskip(SKIP_1) | instid1(VALU_DEP_4)
	v_add_f64 v[122:123], v[118:119], v[46:47]
	v_add_f64 v[46:47], v[38:39], -v[46:47]
	v_add_f64 v[124:125], v[116:117], v[50:51]
	v_add_f64 v[116:117], v[34:35], v[40:41]
	s_delay_alu instid0(VALU_DEP_1) | instskip(NEXT) | instid1(VALU_DEP_3)
	v_add_f64 v[126:127], v[116:117], v[48:49]
	v_add_f64 v[116:117], v[120:121], v[124:125]
	v_add_f64 v[120:121], v[120:121], -v[124:125]
	v_add_f64 v[124:125], v[42:43], v[50:51]
	v_add_f64 v[42:43], v[42:43], -v[50:51]
	;; [unrolled: 2-line block ×4, first 2 shown]
	v_fma_f64 v[126:127], v[44:45], s[0:1], v[94:95]
	v_fma_f64 v[30:31], v[124:125], -0.5, v[30:31]
	v_fma_f64 v[50:51], v[50:51], -0.5, v[34:35]
	s_delay_alu instid0(VALU_DEP_2) | instskip(SKIP_1) | instid1(VALU_DEP_3)
	v_fma_f64 v[38:39], v[48:49], s[8:9], v[30:31]
	v_fma_f64 v[30:31], v[48:49], s[0:1], v[30:31]
	;; [unrolled: 1-line block ×5, first 2 shown]
	s_delay_alu instid0(VALU_DEP_3) | instskip(SKIP_1) | instid1(VALU_DEP_4)
	v_mul_f64 v[36:37], v[34:35], s[8:9]
	v_mul_f64 v[34:35], v[34:35], 0.5
	v_mul_f64 v[44:45], v[42:43], s[8:9]
	v_mul_f64 v[42:43], v[42:43], -0.5
	s_delay_alu instid0(VALU_DEP_4) | instskip(NEXT) | instid1(VALU_DEP_4)
	v_fma_f64 v[40:41], v[38:39], 0.5, v[36:37]
	v_fma_f64 v[124:125], v[38:39], s[0:1], v[34:35]
	v_fma_f64 v[38:39], v[46:47], s[8:9], v[84:85]
	;; [unrolled: 1-line block ×3, first 2 shown]
	v_fma_f64 v[48:49], v[30:31], -0.5, v[44:45]
	v_fma_f64 v[30:31], v[30:31], s[0:1], v[42:43]
	v_add_f64 v[36:37], v[126:127], v[124:125]
	v_add_f64 v[34:35], v[38:39], v[40:41]
	v_add_f64 v[38:39], v[38:39], -v[40:41]
	v_add_f64 v[42:43], v[46:47], v[48:49]
	v_add_f64 v[44:45], v[50:51], v[30:31]
	v_add_f64 v[46:47], v[46:47], -v[48:49]
	v_add_f64 v[48:49], v[50:51], -v[30:31]
	v_add_f64 v[30:31], v[20:21], v[28:29]
	v_add_f64 v[40:41], v[126:127], -v[124:125]
	ds_load_b128 v[124:127], v214 offset:1024
	v_add_f64 v[50:51], v[22:23], v[32:33]
	s_waitcnt lgkmcnt(0)
	v_add_f64 v[84:85], v[124:125], v[20:21]
	v_add_f64 v[94:95], v[126:127], v[22:23]
	v_fma_f64 v[30:31], v[30:31], -0.5, v[124:125]
	v_add_f64 v[124:125], v[16:17], v[26:27]
	v_fma_f64 v[50:51], v[50:51], -0.5, v[126:127]
	v_add_f64 v[84:85], v[84:85], v[28:29]
	v_add_f64 v[94:95], v[94:95], v[32:33]
	v_add_f64 v[32:33], v[22:23], -v[32:33]
	v_add_f64 v[28:29], v[20:21], -v[28:29]
	v_add_f64 v[128:129], v[124:125], v[54:55]
	v_add_f64 v[124:125], v[18:19], v[24:25]
	s_delay_alu instid0(VALU_DEP_1) | instskip(NEXT) | instid1(VALU_DEP_3)
	v_add_f64 v[130:131], v[124:125], v[52:53]
	v_add_f64 v[124:125], v[84:85], v[128:129]
	v_add_f64 v[128:129], v[84:85], -v[128:129]
	v_add_f64 v[84:85], v[24:25], v[52:53]
	v_add_f64 v[24:25], v[24:25], -v[52:53]
	;; [unrolled: 2-line block ×3, first 2 shown]
	v_fma_f64 v[94:95], v[28:29], s[0:1], v[50:51]
	v_fma_f64 v[84:85], v[84:85], -0.5, v[18:19]
	v_add_f64 v[18:19], v[26:27], v[54:55]
	v_add_f64 v[26:27], v[26:27], -v[54:55]
	s_delay_alu instid0(VALU_DEP_2) | instskip(NEXT) | instid1(VALU_DEP_2)
	v_fma_f64 v[54:55], v[18:19], -0.5, v[16:17]
	v_fma_f64 v[16:17], v[26:27], s[0:1], v[84:85]
	v_fma_f64 v[26:27], v[26:27], s[8:9], v[84:85]
	s_delay_alu instid0(VALU_DEP_3) | instskip(NEXT) | instid1(VALU_DEP_3)
	v_fma_f64 v[20:21], v[24:25], s[8:9], v[54:55]
	v_mul_f64 v[18:19], v[16:17], s[8:9]
	v_mul_f64 v[16:17], v[16:17], 0.5
	v_fma_f64 v[24:25], v[24:25], s[0:1], v[54:55]
	s_delay_alu instid0(VALU_DEP_3) | instskip(NEXT) | instid1(VALU_DEP_3)
	v_fma_f64 v[22:23], v[20:21], 0.5, v[18:19]
	v_fma_f64 v[52:53], v[20:21], s[0:1], v[16:17]
	v_fma_f64 v[20:21], v[32:33], s[8:9], v[30:31]
	;; [unrolled: 1-line block ×4, first 2 shown]
	v_mul_f64 v[28:29], v[26:27], s[8:9]
	v_mul_f64 v[26:27], v[26:27], -0.5
	v_add_f64 v[18:19], v[94:95], v[52:53]
	v_add_f64 v[16:17], v[20:21], v[22:23]
	v_add_f64 v[20:21], v[20:21], -v[22:23]
	v_add_f64 v[22:23], v[94:95], -v[52:53]
	v_fma_f64 v[28:29], v[24:25], -0.5, v[28:29]
	v_fma_f64 v[50:51], v[24:25], s[0:1], v[26:27]
	s_mov_b32 s0, 0x11111111
	s_mov_b32 s1, 0x3f611111
	s_delay_alu instid0(VALU_DEP_2) | instskip(NEXT) | instid1(VALU_DEP_2)
	v_add_f64 v[24:25], v[30:31], v[28:29]
	v_add_f64 v[26:27], v[32:33], v[50:51]
	v_add_f64 v[28:29], v[30:31], -v[28:29]
	v_add_f64 v[30:31], v[32:33], -v[50:51]
	ds_store_b128 v152, v[12:15]
	ds_store_b128 v214, v[64:67] offset:1280
	ds_store_b128 v214, v[80:83] offset:1536
	;; [unrolled: 1-line block ×29, first 2 shown]
	s_waitcnt lgkmcnt(0)
	s_barrier
	buffer_gl0_inv
	s_clause 0x5
	scratch_load_b128 v[6:9], off, off offset:204
	scratch_load_b128 v[10:13], off, off offset:188
	;; [unrolled: 1-line block ×6, first 2 shown]
	ds_load_b128 v[2:5], v152
	s_clause 0x12
	scratch_load_b128 v[30:33], off, off offset:76
	scratch_load_b128 v[34:37], off, off offset:60
	scratch_load_b128 v[38:41], off, off offset:108
	scratch_load_b128 v[42:45], off, off offset:92
	scratch_load_b128 v[46:49], off, off offset:220
	scratch_load_b128 v[102:105], off, off offset:300
	scratch_load_b128 v[50:53], off, off offset:412
	scratch_load_b128 v[66:69], off, off offset:428
	scratch_load_b128 v[54:57], off, off offset:508
	scratch_load_b128 v[58:61], off, off offset:524
	scratch_load_b128 v[62:65], off, off offset:460
	scratch_load_b128 v[74:77], off, off offset:444
	scratch_load_b128 v[70:73], off, off offset:476
	scratch_load_b128 v[78:81], off, off offset:492
	scratch_load_b128 v[82:85], off, off offset:348
	scratch_load_b128 v[86:89], off, off offset:364
	scratch_load_b128 v[90:93], off, off offset:380
	scratch_load_b128 v[94:97], off, off offset:396
	scratch_load_b32 v98, off, off offset:56
	s_waitcnt vmcnt(24) lgkmcnt(0)
	v_mul_f64 v[0:1], v[8:9], v[4:5]
	s_delay_alu instid0(VALU_DEP_1) | instskip(SKIP_1) | instid1(VALU_DEP_2)
	v_fma_f64 v[0:1], v[6:7], v[2:3], v[0:1]
	v_mul_f64 v[2:3], v[8:9], v[2:3]
	v_mul_f64 v[0:1], v[0:1], s[0:1]
	s_delay_alu instid0(VALU_DEP_2) | instskip(SKIP_4) | instid1(VALU_DEP_2)
	v_fma_f64 v[2:3], v[6:7], v[4:5], -v[2:3]
	ds_load_b128 v[4:7], v214 offset:768
	s_waitcnt vmcnt(23) lgkmcnt(0)
	v_mul_f64 v[8:9], v[12:13], v[6:7]
	v_mul_f64 v[2:3], v[2:3], s[0:1]
	v_fma_f64 v[8:9], v[10:11], v[4:5], v[8:9]
	v_mul_f64 v[4:5], v[12:13], v[4:5]
	s_delay_alu instid0(VALU_DEP_1) | instskip(SKIP_3) | instid1(VALU_DEP_1)
	v_fma_f64 v[10:11], v[10:11], v[6:7], -v[4:5]
	ds_load_b128 v[4:7], v214 offset:1536
	s_waitcnt vmcnt(22) lgkmcnt(0)
	v_mul_f64 v[12:13], v[16:17], v[6:7]
	v_fma_f64 v[12:13], v[14:15], v[4:5], v[12:13]
	v_mul_f64 v[4:5], v[16:17], v[4:5]
	s_delay_alu instid0(VALU_DEP_1) | instskip(SKIP_3) | instid1(VALU_DEP_1)
	v_fma_f64 v[14:15], v[14:15], v[6:7], -v[4:5]
	ds_load_b128 v[4:7], v214 offset:2304
	s_waitcnt vmcnt(20) lgkmcnt(0)
	;; [unrolled: 7-line block ×3, first 2 shown]
	v_mul_f64 v[20:21], v[24:25], v[6:7]
	v_fma_f64 v[20:21], v[22:23], v[4:5], v[20:21]
	v_mul_f64 v[4:5], v[24:25], v[4:5]
	s_delay_alu instid0(VALU_DEP_1) | instskip(SKIP_3) | instid1(VALU_DEP_1)
	v_fma_f64 v[22:23], v[22:23], v[6:7], -v[4:5]
	ds_load_b128 v[4:7], v214 offset:3840
	s_waitcnt lgkmcnt(0)
	v_mul_f64 v[24:25], v[28:29], v[6:7]
	v_fma_f64 v[24:25], v[26:27], v[4:5], v[24:25]
	v_mul_f64 v[4:5], v[28:29], v[4:5]
	s_delay_alu instid0(VALU_DEP_1) | instskip(SKIP_3) | instid1(VALU_DEP_1)
	v_fma_f64 v[26:27], v[26:27], v[6:7], -v[4:5]
	ds_load_b128 v[4:7], v214 offset:4608
	s_waitcnt vmcnt(18) lgkmcnt(0)
	v_mul_f64 v[28:29], v[32:33], v[6:7]
	v_fma_f64 v[28:29], v[30:31], v[4:5], v[28:29]
	v_mul_f64 v[4:5], v[32:33], v[4:5]
	s_delay_alu instid0(VALU_DEP_1) | instskip(SKIP_3) | instid1(VALU_DEP_1)
	v_fma_f64 v[30:31], v[30:31], v[6:7], -v[4:5]
	ds_load_b128 v[4:7], v214 offset:5376
	s_waitcnt vmcnt(17) lgkmcnt(0)
	;; [unrolled: 7-line block ×9, first 2 shown]
	v_mul_f64 v[60:61], v[64:65], v[6:7]
	v_fma_f64 v[60:61], v[62:63], v[4:5], v[60:61]
	v_mul_f64 v[4:5], v[64:65], v[4:5]
	s_delay_alu instid0(VALU_DEP_1) | instskip(SKIP_3) | instid1(VALU_DEP_1)
	v_fma_f64 v[62:63], v[62:63], v[6:7], -v[4:5]
	ds_load_b128 v[4:7], v214 offset:4096
	s_waitcnt lgkmcnt(0)
	v_mul_f64 v[64:65], v[68:69], v[6:7]
	v_fma_f64 v[64:65], v[66:67], v[4:5], v[64:65]
	v_mul_f64 v[4:5], v[68:69], v[4:5]
	s_delay_alu instid0(VALU_DEP_1) | instskip(SKIP_3) | instid1(VALU_DEP_1)
	v_fma_f64 v[66:67], v[66:67], v[6:7], -v[4:5]
	ds_load_b128 v[4:7], v214 offset:4864
	s_waitcnt vmcnt(6) lgkmcnt(0)
	v_mul_f64 v[68:69], v[72:73], v[6:7]
	v_fma_f64 v[68:69], v[70:71], v[4:5], v[68:69]
	v_mul_f64 v[4:5], v[72:73], v[4:5]
	s_delay_alu instid0(VALU_DEP_1) | instskip(SKIP_3) | instid1(VALU_DEP_1)
	v_fma_f64 v[70:71], v[70:71], v[6:7], -v[4:5]
	ds_load_b128 v[4:7], v214 offset:5632
	s_waitcnt lgkmcnt(0)
	v_mul_f64 v[72:73], v[76:77], v[6:7]
	v_fma_f64 v[72:73], v[74:75], v[4:5], v[72:73]
	v_mul_f64 v[4:5], v[76:77], v[4:5]
	s_delay_alu instid0(VALU_DEP_1) | instskip(SKIP_3) | instid1(VALU_DEP_1)
	v_fma_f64 v[74:75], v[74:75], v[6:7], -v[4:5]
	ds_load_b128 v[4:7], v214 offset:6400
	s_waitcnt vmcnt(5) lgkmcnt(0)
	v_mul_f64 v[76:77], v[80:81], v[6:7]
	v_fma_f64 v[76:77], v[78:79], v[4:5], v[76:77]
	v_mul_f64 v[4:5], v[80:81], v[4:5]
	s_delay_alu instid0(VALU_DEP_1) | instskip(SKIP_3) | instid1(VALU_DEP_1)
	v_fma_f64 v[78:79], v[78:79], v[6:7], -v[4:5]
	ds_load_b128 v[4:7], v214 offset:7168
	s_waitcnt vmcnt(4) lgkmcnt(0)
	;; [unrolled: 7-line block ×5, first 2 shown]
	v_mul_f64 v[92:93], v[96:97], v[6:7]
	v_fma_f64 v[92:93], v[94:95], v[4:5], v[92:93]
	v_mul_f64 v[4:5], v[96:97], v[4:5]
	s_delay_alu instid0(VALU_DEP_1) | instskip(SKIP_3) | instid1(VALU_DEP_1)
	v_fma_f64 v[94:95], v[94:95], v[6:7], -v[4:5]
	scratch_load_b64 v[4:5], off, off offset:48 ; 8-byte Folded Reload
	s_waitcnt vmcnt(0)
	v_mov_b32_e32 v96, v4
	v_mad_u64_u32 v[4:5], null, s6, v96, 0
	s_delay_alu instid0(VALU_DEP_1) | instskip(NEXT) | instid1(VALU_DEP_1)
	v_mad_u64_u32 v[6:7], null, s7, v96, v[5:6]
	v_mov_b32_e32 v5, v6
	v_mad_u64_u32 v[6:7], null, s4, v98, 0
	s_delay_alu instid0(VALU_DEP_2) | instskip(NEXT) | instid1(VALU_DEP_2)
	v_lshlrev_b64 v[4:5], 4, v[4:5]
	v_mad_u64_u32 v[96:97], null, s5, v98, v[7:8]
	s_delay_alu instid0(VALU_DEP_1) | instskip(NEXT) | instid1(VALU_DEP_3)
	v_mov_b32_e32 v7, v96
	v_add_co_u32 v96, vcc_lo, s2, v4
	s_delay_alu instid0(VALU_DEP_4) | instskip(NEXT) | instid1(VALU_DEP_3)
	v_add_co_ci_u32_e32 v97, vcc_lo, s3, v5, vcc_lo
	v_lshlrev_b64 v[4:5], 4, v[6:7]
	s_mul_i32 s2, s5, 0x300
	s_mul_hi_u32 s3, s4, 0x300
	v_mul_f64 v[6:7], v[26:27], s[0:1]
	s_add_i32 s3, s3, s2
	s_mul_i32 s2, s4, 0x300
	v_add_co_u32 v4, vcc_lo, v96, v4
	v_add_co_ci_u32_e32 v5, vcc_lo, v97, v5, vcc_lo
	scratch_load_b128 v[96:99], off, off offset:268 ; 16-byte Folded Reload
	s_mulk_i32 s5, 0xe600
	global_store_b128 v[4:5], v[0:3], off
	v_mul_f64 v[0:1], v[8:9], s[0:1]
	v_mul_f64 v[2:3], v[10:11], s[0:1]
	v_add_co_u32 v4, vcc_lo, v4, s2
	v_add_co_ci_u32_e32 v5, vcc_lo, s3, v5, vcc_lo
	v_mul_f64 v[8:9], v[28:29], s[0:1]
	v_mul_f64 v[10:11], v[30:31], s[0:1]
	;; [unrolled: 1-line block ×3, first 2 shown]
	s_sub_i32 s5, s5, s4
	global_store_b128 v[4:5], v[0:3], off
	v_mul_f64 v[0:1], v[12:13], s[0:1]
	v_mul_f64 v[2:3], v[14:15], s[0:1]
	v_add_co_u32 v4, vcc_lo, v4, s2
	v_add_co_ci_u32_e32 v5, vcc_lo, s3, v5, vcc_lo
	v_mul_f64 v[14:15], v[34:35], s[0:1]
	s_delay_alu instid0(VALU_DEP_3) | instskip(NEXT) | instid1(VALU_DEP_3)
	v_add_co_u32 v12, vcc_lo, v4, s2
	v_add_co_ci_u32_e32 v13, vcc_lo, s3, v5, vcc_lo
	global_store_b128 v[4:5], v[0:3], off
	v_mul_f64 v[0:1], v[16:17], s[0:1]
	v_mul_f64 v[2:3], v[18:19], s[0:1]
	v_mul_f64 v[4:5], v[24:25], s[0:1]
	v_add_co_u32 v24, vcc_lo, v12, s2
	v_add_co_ci_u32_e32 v25, vcc_lo, s3, v13, vcc_lo
	v_mul_f64 v[16:17], v[36:37], s[0:1]
	v_mul_f64 v[18:19], v[38:39], s[0:1]
	global_store_b128 v[12:13], v[0:3], off
	v_mul_f64 v[0:1], v[20:21], s[0:1]
	v_mul_f64 v[2:3], v[22:23], s[0:1]
	;; [unrolled: 1-line block ×5, first 2 shown]
	global_store_b128 v[24:25], v[0:3], off
	ds_load_b128 v[0:3], v214 offset:2816
	v_add_co_u32 v24, vcc_lo, v24, s2
	v_add_co_ci_u32_e32 v25, vcc_lo, s3, v25, vcc_lo
	s_delay_alu instid0(VALU_DEP_2)
	v_add_co_u32 v26, vcc_lo, v24, s2
	global_store_b128 v[24:25], v[4:7], off
	ds_load_b128 v[4:7], v214 offset:3584
	v_add_co_ci_u32_e32 v27, vcc_lo, s3, v25, vcc_lo
	v_add_co_u32 v28, vcc_lo, v26, s2
	v_mul_f64 v[24:25], v[48:49], s[0:1]
	global_store_b128 v[26:27], v[8:11], off
	v_mul_f64 v[8:9], v[44:45], s[0:1]
	v_mul_f64 v[10:11], v[46:47], s[0:1]
	v_add_co_ci_u32_e32 v29, vcc_lo, s3, v27, vcc_lo
	s_waitcnt lgkmcnt(1)
	v_mul_f64 v[32:33], v[104:105], v[2:3]
	v_mul_f64 v[34:35], v[104:105], v[0:1]
	v_add_co_u32 v36, vcc_lo, v28, s2
	v_add_co_ci_u32_e32 v37, vcc_lo, s3, v29, vcc_lo
	global_store_b128 v[28:29], v[12:15], off
	ds_load_b128 v[12:15], v214 offset:4352
	v_add_co_u32 v38, vcc_lo, v36, s2
	global_store_b128 v[36:37], v[16:19], off
	ds_load_b128 v[16:19], v214 offset:5120
	v_mul_f64 v[26:27], v[50:51], s[0:1]
	v_add_co_ci_u32_e32 v39, vcc_lo, s3, v37, vcc_lo
	v_mul_f64 v[28:29], v[52:53], s[0:1]
	s_delay_alu instid0(VALU_DEP_2)
	v_mad_u64_u32 v[42:43], null, 0xffffe600, s4, v[38:39]
	global_store_b128 v[38:39], v[20:23], off
	v_mul_f64 v[20:21], v[56:57], s[0:1]
	v_mul_f64 v[22:23], v[58:59], s[0:1]
	v_add_nc_u32_e32 v43, s5, v43
	global_store_b128 v[42:43], v[8:11], off
	ds_load_b128 v[8:11], v214 offset:5888
	v_fma_f64 v[44:45], v[102:103], v[0:1], v[32:33]
	v_fma_f64 v[46:47], v[102:103], v[2:3], -v[34:35]
	scratch_load_b128 v[102:105], off, off offset:236 ; 16-byte Folded Reload
	ds_load_b128 v[0:3], v214 offset:6656
	v_add_co_u32 v32, vcc_lo, v42, s2
	v_add_co_ci_u32_e32 v33, vcc_lo, s3, v43, vcc_lo
	s_delay_alu instid0(VALU_DEP_2) | instskip(NEXT) | instid1(VALU_DEP_2)
	v_add_co_u32 v42, vcc_lo, v32, s2
	v_add_co_ci_u32_e32 v43, vcc_lo, s3, v33, vcc_lo
	global_store_b128 v[32:33], v[24:27], off
	ds_load_b128 v[24:27], v214 offset:7424
	v_mul_f64 v[32:33], v[64:65], s[0:1]
	global_store_b128 v[42:43], v[28:31], off
	v_mul_f64 v[28:29], v[60:61], s[0:1]
	v_mul_f64 v[30:31], v[62:63], s[0:1]
	v_add_co_u32 v48, vcc_lo, v42, s2
	v_add_co_ci_u32_e32 v49, vcc_lo, s3, v43, vcc_lo
	s_delay_alu instid0(VALU_DEP_2) | instskip(NEXT) | instid1(VALU_DEP_2)
	v_add_co_u32 v42, vcc_lo, v48, s2
	v_add_co_ci_u32_e32 v43, vcc_lo, s3, v49, vcc_lo
	global_store_b128 v[48:49], v[20:23], off
	global_store_b128 v[42:43], v[28:31], off
	s_waitcnt vmcnt(1) lgkmcnt(5)
	v_mul_f64 v[36:37], v[98:99], v[6:7]
	v_mul_f64 v[40:41], v[98:99], v[4:5]
	scratch_load_b128 v[98:101], off, off offset:284 ; 16-byte Folded Reload
	v_fma_f64 v[52:53], v[96:97], v[4:5], v[36:37]
	v_fma_f64 v[40:41], v[96:97], v[6:7], -v[40:41]
	v_mul_f64 v[4:5], v[68:69], s[0:1]
	v_mul_f64 v[6:7], v[70:71], s[0:1]
	;; [unrolled: 1-line block ×3, first 2 shown]
	s_waitcnt vmcnt(1) lgkmcnt(3)
	v_mul_f64 v[50:51], v[104:105], v[18:19]
	v_mul_f64 v[54:55], v[104:105], v[16:17]
	scratch_load_b128 v[104:107], off, off offset:252 ; 16-byte Folded Reload
	v_fma_f64 v[50:51], v[102:103], v[16:17], v[50:51]
	v_fma_f64 v[54:55], v[102:103], v[18:19], -v[54:55]
	v_mul_f64 v[16:17], v[44:45], s[0:1]
	v_mul_f64 v[18:19], v[46:47], s[0:1]
	s_delay_alu instid0(VALU_DEP_4) | instskip(NEXT) | instid1(VALU_DEP_4)
	v_mul_f64 v[28:29], v[50:51], s[0:1]
	v_mul_f64 v[30:31], v[54:55], s[0:1]
	s_waitcnt vmcnt(1)
	v_mul_f64 v[38:39], v[100:101], v[14:15]
	v_mul_f64 v[34:35], v[100:101], v[12:13]
	s_delay_alu instid0(VALU_DEP_2) | instskip(NEXT) | instid1(VALU_DEP_2)
	v_fma_f64 v[62:63], v[98:99], v[12:13], v[38:39]
	v_fma_f64 v[64:65], v[98:99], v[14:15], -v[34:35]
	v_mul_f64 v[34:35], v[66:67], s[0:1]
	v_mul_f64 v[12:13], v[72:73], s[0:1]
	v_mul_f64 v[14:15], v[74:75], s[0:1]
	v_add_co_u32 v66, vcc_lo, v42, s2
	v_add_co_ci_u32_e32 v67, vcc_lo, s3, v43, vcc_lo
	v_mul_f64 v[38:39], v[78:79], s[0:1]
	s_delay_alu instid0(VALU_DEP_3) | instskip(NEXT) | instid1(VALU_DEP_3)
	v_add_co_u32 v68, vcc_lo, v66, s2
	v_add_co_ci_u32_e32 v69, vcc_lo, s3, v67, vcc_lo
	s_delay_alu instid0(VALU_DEP_2) | instskip(NEXT) | instid1(VALU_DEP_2)
	v_add_co_u32 v20, vcc_lo, v68, s2
	v_add_co_ci_u32_e32 v21, vcc_lo, s3, v69, vcc_lo
	s_delay_alu instid0(VALU_DEP_2) | instskip(NEXT) | instid1(VALU_DEP_2)
	;; [unrolled: 3-line block ×3, first 2 shown]
	v_add_co_u32 v48, vcc_lo, v22, s2
	v_add_co_ci_u32_e32 v49, vcc_lo, s3, v23, vcc_lo
	s_delay_alu instid0(VALU_DEP_1) | instskip(NEXT) | instid1(VALU_DEP_1)
	v_mad_u64_u32 v[76:77], null, 0xffffe600, s4, v[48:49]
	v_add_nc_u32_e32 v77, s5, v77
	s_waitcnt vmcnt(0) lgkmcnt(2)
	v_mul_f64 v[56:57], v[106:107], v[10:11]
	v_mul_f64 v[58:59], v[106:107], v[8:9]
	scratch_load_b128 v[106:109], off, off offset:316 ; 16-byte Folded Reload
	v_fma_f64 v[56:57], v[104:105], v[8:9], v[56:57]
	v_fma_f64 v[58:59], v[104:105], v[10:11], -v[58:59]
	v_mul_f64 v[8:9], v[88:89], s[0:1]
	v_mul_f64 v[10:11], v[90:91], s[0:1]
	s_waitcnt vmcnt(0) lgkmcnt(1)
	v_mul_f64 v[60:61], v[108:109], v[2:3]
	v_mul_f64 v[96:97], v[108:109], v[0:1]
	scratch_load_b128 v[108:111], off, off offset:332 ; 16-byte Folded Reload
	global_store_b128 v[66:67], v[32:35], off
	global_store_b128 v[68:69], v[4:7], off
	;; [unrolled: 1-line block ×3, first 2 shown]
	v_mul_f64 v[4:5], v[84:85], s[0:1]
	v_mul_f64 v[6:7], v[86:87], s[0:1]
	v_add_co_u32 v66, vcc_lo, v76, s2
	global_store_b128 v[22:23], v[36:39], off
	v_add_co_ci_u32_e32 v67, vcc_lo, s3, v77, vcc_lo
	v_mul_f64 v[12:13], v[92:93], s[0:1]
	v_mul_f64 v[14:15], v[94:95], s[0:1]
	v_mul_f64 v[20:21], v[52:53], s[0:1]
	v_mul_f64 v[22:23], v[40:41], s[0:1]
	v_add_co_u32 v44, vcc_lo, v66, s2
	v_add_co_ci_u32_e32 v45, vcc_lo, s3, v67, vcc_lo
	v_mul_f64 v[32:33], v[56:57], s[0:1]
	v_mul_f64 v[34:35], v[58:59], s[0:1]
	s_delay_alu instid0(VALU_DEP_4) | instskip(NEXT) | instid1(VALU_DEP_4)
	v_add_co_u32 v46, vcc_lo, v44, s2
	v_add_co_ci_u32_e32 v47, vcc_lo, s3, v45, vcc_lo
	v_fma_f64 v[60:61], v[106:107], v[0:1], v[60:61]
	v_fma_f64 v[70:71], v[106:107], v[2:3], -v[96:97]
	v_mul_f64 v[0:1], v[80:81], s[0:1]
	v_mul_f64 v[2:3], v[82:83], s[0:1]
	s_delay_alu instid0(VALU_DEP_4) | instskip(NEXT) | instid1(VALU_DEP_4)
	v_mul_f64 v[36:37], v[60:61], s[0:1]
	v_mul_f64 v[38:39], v[70:71], s[0:1]
	global_store_b128 v[48:49], v[0:3], off
	v_add_co_u32 v0, vcc_lo, v46, s2
	v_add_co_ci_u32_e32 v1, vcc_lo, s3, v47, vcc_lo
	global_store_b128 v[76:77], v[4:7], off
	v_add_co_u32 v2, vcc_lo, v0, s2
	v_add_co_ci_u32_e32 v3, vcc_lo, s3, v1, vcc_lo
	;; [unrolled: 3-line block ×6, first 2 shown]
	s_waitcnt vmcnt(0) lgkmcnt(0)
	v_mul_f64 v[98:99], v[110:111], v[26:27]
	v_mul_f64 v[100:101], v[110:111], v[24:25]
	s_delay_alu instid0(VALU_DEP_2) | instskip(NEXT) | instid1(VALU_DEP_2)
	v_fma_f64 v[72:73], v[108:109], v[24:25], v[98:99]
	v_fma_f64 v[74:75], v[108:109], v[26:27], -v[100:101]
	v_mul_f64 v[24:25], v[62:63], s[0:1]
	v_mul_f64 v[26:27], v[64:65], s[0:1]
	s_delay_alu instid0(VALU_DEP_4) | instskip(NEXT) | instid1(VALU_DEP_4)
	v_mul_f64 v[40:41], v[72:73], s[0:1]
	v_mul_f64 v[42:43], v[74:75], s[0:1]
	global_store_b128 v[2:3], v[24:27], off
	global_store_b128 v[4:5], v[28:31], off
	;; [unrolled: 1-line block ×5, first 2 shown]
.LBB0_10:
	s_nop 0
	s_sendmsg sendmsg(MSG_DEALLOC_VGPRS)
	s_endpgm
	.section	.rodata,"a",@progbits
	.p2align	6, 0x0
	.amdhsa_kernel bluestein_single_fwd_len480_dim1_dp_op_CI_CI
		.amdhsa_group_segment_fixed_size 30720
		.amdhsa_private_segment_fixed_size 1196
		.amdhsa_kernarg_size 104
		.amdhsa_user_sgpr_count 15
		.amdhsa_user_sgpr_dispatch_ptr 0
		.amdhsa_user_sgpr_queue_ptr 0
		.amdhsa_user_sgpr_kernarg_segment_ptr 1
		.amdhsa_user_sgpr_dispatch_id 0
		.amdhsa_user_sgpr_private_segment_size 0
		.amdhsa_wavefront_size32 1
		.amdhsa_uses_dynamic_stack 0
		.amdhsa_enable_private_segment 1
		.amdhsa_system_sgpr_workgroup_id_x 1
		.amdhsa_system_sgpr_workgroup_id_y 0
		.amdhsa_system_sgpr_workgroup_id_z 0
		.amdhsa_system_sgpr_workgroup_info 0
		.amdhsa_system_vgpr_workitem_id 0
		.amdhsa_next_free_vgpr 256
		.amdhsa_next_free_sgpr 22
		.amdhsa_reserve_vcc 1
		.amdhsa_float_round_mode_32 0
		.amdhsa_float_round_mode_16_64 0
		.amdhsa_float_denorm_mode_32 3
		.amdhsa_float_denorm_mode_16_64 3
		.amdhsa_dx10_clamp 1
		.amdhsa_ieee_mode 1
		.amdhsa_fp16_overflow 0
		.amdhsa_workgroup_processor_mode 1
		.amdhsa_memory_ordered 1
		.amdhsa_forward_progress 0
		.amdhsa_shared_vgpr_count 0
		.amdhsa_exception_fp_ieee_invalid_op 0
		.amdhsa_exception_fp_denorm_src 0
		.amdhsa_exception_fp_ieee_div_zero 0
		.amdhsa_exception_fp_ieee_overflow 0
		.amdhsa_exception_fp_ieee_underflow 0
		.amdhsa_exception_fp_ieee_inexact 0
		.amdhsa_exception_int_div_zero 0
	.end_amdhsa_kernel
	.text
.Lfunc_end0:
	.size	bluestein_single_fwd_len480_dim1_dp_op_CI_CI, .Lfunc_end0-bluestein_single_fwd_len480_dim1_dp_op_CI_CI
                                        ; -- End function
	.section	.AMDGPU.csdata,"",@progbits
; Kernel info:
; codeLenInByte = 33220
; NumSgprs: 24
; NumVgprs: 256
; ScratchSize: 1196
; MemoryBound: 0
; FloatMode: 240
; IeeeMode: 1
; LDSByteSize: 30720 bytes/workgroup (compile time only)
; SGPRBlocks: 2
; VGPRBlocks: 31
; NumSGPRsForWavesPerEU: 24
; NumVGPRsForWavesPerEU: 256
; Occupancy: 2
; WaveLimiterHint : 1
; COMPUTE_PGM_RSRC2:SCRATCH_EN: 1
; COMPUTE_PGM_RSRC2:USER_SGPR: 15
; COMPUTE_PGM_RSRC2:TRAP_HANDLER: 0
; COMPUTE_PGM_RSRC2:TGID_X_EN: 1
; COMPUTE_PGM_RSRC2:TGID_Y_EN: 0
; COMPUTE_PGM_RSRC2:TGID_Z_EN: 0
; COMPUTE_PGM_RSRC2:TIDIG_COMP_CNT: 0
	.text
	.p2alignl 7, 3214868480
	.fill 96, 4, 3214868480
	.type	__hip_cuid_507a3c4c105cc6e,@object ; @__hip_cuid_507a3c4c105cc6e
	.section	.bss,"aw",@nobits
	.globl	__hip_cuid_507a3c4c105cc6e
__hip_cuid_507a3c4c105cc6e:
	.byte	0                               ; 0x0
	.size	__hip_cuid_507a3c4c105cc6e, 1

	.ident	"AMD clang version 19.0.0git (https://github.com/RadeonOpenCompute/llvm-project roc-6.4.0 25133 c7fe45cf4b819c5991fe208aaa96edf142730f1d)"
	.section	".note.GNU-stack","",@progbits
	.addrsig
	.addrsig_sym __hip_cuid_507a3c4c105cc6e
	.amdgpu_metadata
---
amdhsa.kernels:
  - .args:
      - .actual_access:  read_only
        .address_space:  global
        .offset:         0
        .size:           8
        .value_kind:     global_buffer
      - .actual_access:  read_only
        .address_space:  global
        .offset:         8
        .size:           8
        .value_kind:     global_buffer
      - .actual_access:  read_only
        .address_space:  global
        .offset:         16
        .size:           8
        .value_kind:     global_buffer
      - .actual_access:  read_only
        .address_space:  global
        .offset:         24
        .size:           8
        .value_kind:     global_buffer
      - .actual_access:  read_only
        .address_space:  global
        .offset:         32
        .size:           8
        .value_kind:     global_buffer
      - .offset:         40
        .size:           8
        .value_kind:     by_value
      - .address_space:  global
        .offset:         48
        .size:           8
        .value_kind:     global_buffer
      - .address_space:  global
        .offset:         56
        .size:           8
        .value_kind:     global_buffer
      - .address_space:  global
        .offset:         64
        .size:           8
        .value_kind:     global_buffer
      - .address_space:  global
        .offset:         72
        .size:           8
        .value_kind:     global_buffer
      - .offset:         80
        .size:           4
        .value_kind:     by_value
      - .address_space:  global
        .offset:         88
        .size:           8
        .value_kind:     global_buffer
      - .address_space:  global
        .offset:         96
        .size:           8
        .value_kind:     global_buffer
    .group_segment_fixed_size: 30720
    .kernarg_segment_align: 8
    .kernarg_segment_size: 104
    .language:       OpenCL C
    .language_version:
      - 2
      - 0
    .max_flat_workgroup_size: 64
    .name:           bluestein_single_fwd_len480_dim1_dp_op_CI_CI
    .private_segment_fixed_size: 1196
    .sgpr_count:     24
    .sgpr_spill_count: 0
    .symbol:         bluestein_single_fwd_len480_dim1_dp_op_CI_CI.kd
    .uniform_work_group_size: 1
    .uses_dynamic_stack: false
    .vgpr_count:     256
    .vgpr_spill_count: 308
    .wavefront_size: 32
    .workgroup_processor_mode: 1
amdhsa.target:   amdgcn-amd-amdhsa--gfx1100
amdhsa.version:
  - 1
  - 2
...

	.end_amdgpu_metadata
